;; amdgpu-corpus repo=ROCm/rocFFT kind=compiled arch=gfx950 opt=O3
	.text
	.amdgcn_target "amdgcn-amd-amdhsa--gfx950"
	.amdhsa_code_object_version 6
	.protected	bluestein_single_back_len170_dim1_dp_op_CI_CI ; -- Begin function bluestein_single_back_len170_dim1_dp_op_CI_CI
	.globl	bluestein_single_back_len170_dim1_dp_op_CI_CI
	.p2align	8
	.type	bluestein_single_back_len170_dim1_dp_op_CI_CI,@function
bluestein_single_back_len170_dim1_dp_op_CI_CI: ; @bluestein_single_back_len170_dim1_dp_op_CI_CI
; %bb.0:
	s_load_dwordx4 s[8:11], s[0:1], 0x28
	v_mul_u32_u24_e32 v1, 0xf10, v0
	v_lshrrev_b32_e32 v2, 16, v1
	v_mad_u64_u32 v[156:157], s[2:3], s2, 7, v[2:3]
	v_mov_b32_e32 v157, 0
	s_waitcnt lgkmcnt(0)
	v_cmp_gt_u64_e32 vcc, s[8:9], v[156:157]
	s_and_saveexec_b64 s[2:3], vcc
	s_cbranch_execz .LBB0_15
; %bb.1:
	v_mul_lo_u16_e32 v1, 17, v2
	s_mov_b32 s2, 0x24924925
	v_sub_u16_e32 v152, v0, v1
	v_mul_hi_u32 v0, v156, s2
	v_sub_u32_e32 v1, v156, v0
	v_lshrrev_b32_e32 v1, 1, v1
	v_add_u32_e32 v0, v1, v0
	v_lshrrev_b32_e32 v0, 2, v0
	s_load_dwordx2 s[8:9], s[0:1], 0x0
	s_load_dwordx2 s[12:13], s[0:1], 0x38
	v_mul_lo_u32 v0, v0, 7
	v_sub_u32_e32 v0, v156, v0
	v_mul_u32_u24_e32 v153, 0xaa, v0
	v_lshlrev_b32_e32 v0, 4, v153
	v_cmp_gt_u16_e32 vcc, 10, v152
	v_lshlrev_b32_e32 v157, 4, v152
	v_accvgpr_write_b32 a1, v0
	s_and_saveexec_b64 s[2:3], vcc
	s_cbranch_execz .LBB0_3
; %bb.2:
	s_load_dwordx2 s[4:5], s[0:1], 0x18
	v_mov_b32_e32 v0, s10
	v_mov_b32_e32 v1, s11
	v_or_b32_e32 v59, 0x50, v152
	v_mov_b32_e32 v57, 0xa0
	s_waitcnt lgkmcnt(0)
	s_load_dwordx4 s[4:7], s[4:5], 0x0
	v_accvgpr_read_b32 v12, a1
	v_lshl_add_u32 v58, v152, 4, v12
	v_add_u32_e32 v56, v12, v157
	v_mov_b32_e32 v100, 0x140
	s_waitcnt lgkmcnt(0)
	v_mad_u64_u32 v[2:3], s[10:11], s6, v156, 0
	v_mad_u64_u32 v[4:5], s[10:11], s4, v152, 0
	v_mov_b32_e32 v6, v3
	v_mov_b32_e32 v8, v5
	v_mad_u64_u32 v[6:7], s[6:7], s7, v156, v[6:7]
	v_mov_b32_e32 v3, v6
	v_mad_u64_u32 v[6:7], s[6:7], s5, v152, v[8:9]
	v_mov_b32_e32 v5, v6
	v_lshl_add_u64 v[52:53], v[2:3], 4, v[0:1]
	v_lshl_add_u64 v[54:55], v[4:5], 4, v[52:53]
	v_mad_u64_u32 v[96:97], s[6:7], s4, v59, 0
	global_load_dwordx4 v[0:3], v[54:55], off
	global_load_dwordx4 v[4:7], v157, s[8:9]
	s_mul_i32 s10, s5, 0xa0
	v_mad_u64_u32 v[54:55], s[6:7], s4, v57, v[54:55]
	v_mov_b32_e32 v98, v97
	v_add_u32_e32 v55, s10, v55
	v_mad_u64_u32 v[98:99], s[6:7], s5, v59, v[98:99]
	global_load_dwordx4 v[8:11], v157, s[8:9] offset:160
	global_load_dwordx4 v[12:15], v157, s[8:9] offset:320
	;; [unrolled: 1-line block ×11, first 2 shown]
	global_load_dwordx4 v[60:63], v[54:55], off
	global_load_dwordx4 v[64:67], v157, s[8:9] offset:1920
	global_load_dwordx4 v[68:71], v157, s[8:9] offset:2080
	v_mad_u64_u32 v[54:55], s[6:7], s4, v57, v[54:55]
	v_mov_b32_e32 v97, v98
	v_add_u32_e32 v55, s10, v55
	v_lshl_add_u64 v[96:97], v[96:97], 4, v[52:53]
	global_load_dwordx4 v[72:75], v[54:55], off
	s_mul_i32 s11, s5, 0x140
	global_load_dwordx4 v[96:99], v[96:97], off
	v_mad_u64_u32 v[54:55], s[6:7], s4, v57, v[54:55]
	v_add_u32_e32 v55, s10, v55
	global_load_dwordx4 v[76:79], v[54:55], off
	v_mad_u64_u32 v[54:55], s[6:7], s4, v57, v[54:55]
	v_add_u32_e32 v55, s10, v55
	;; [unrolled: 3-line block ×12, first 2 shown]
	v_or_b32_e32 v57, 0xa0, v152
	global_load_dwordx4 v[128:131], v[54:55], off
	global_load_dwordx4 v[132:135], v157, s[8:9] offset:2240
	global_load_dwordx4 v[136:139], v157, s[8:9] offset:2400
	v_mad_u64_u32 v[54:55], s[6:7], s4, v57, 0
	v_mov_b32_e32 v122, v55
	v_mad_u64_u32 v[122:123], s[4:5], s5, v57, v[122:123]
	v_mov_b32_e32 v55, v122
	v_lshl_add_u64 v[52:53], v[54:55], 4, v[52:53]
	global_load_dwordx4 v[52:55], v[52:53], off
	s_nop 0
	global_load_dwordx4 v[140:143], v157, s[8:9] offset:2560
	s_waitcnt vmcnt(32)
	v_mul_f64 v[120:121], v[2:3], v[6:7]
	v_mul_f64 v[6:7], v[0:1], v[6:7]
	v_fmac_f64_e32 v[120:121], v[0:1], v[4:5]
	v_fma_f64 v[122:123], v[2:3], v[4:5], -v[6:7]
	ds_write_b128 v58, v[120:123]
	s_waitcnt vmcnt(20)
	v_mul_f64 v[0:1], v[62:63], v[10:11]
	v_mul_f64 v[2:3], v[60:61], v[10:11]
	v_fmac_f64_e32 v[0:1], v[60:61], v[8:9]
	v_fma_f64 v[2:3], v[62:63], v[8:9], -v[2:3]
	ds_write_b128 v56, v[0:3] offset:160
	s_waitcnt vmcnt(17)
	v_mul_f64 v[0:1], v[74:75], v[14:15]
	v_mul_f64 v[2:3], v[72:73], v[14:15]
	v_fmac_f64_e32 v[0:1], v[72:73], v[12:13]
	v_fma_f64 v[2:3], v[74:75], v[12:13], -v[2:3]
	ds_write_b128 v56, v[0:3] offset:320
	s_waitcnt vmcnt(15)
	v_mul_f64 v[0:1], v[78:79], v[18:19]
	v_mul_f64 v[2:3], v[76:77], v[18:19]
	v_fmac_f64_e32 v[0:1], v[76:77], v[16:17]
	v_fma_f64 v[2:3], v[78:79], v[16:17], -v[2:3]
	ds_write_b128 v56, v[0:3] offset:480
	s_waitcnt vmcnt(14)
	v_mul_f64 v[0:1], v[82:83], v[22:23]
	v_mul_f64 v[2:3], v[80:81], v[22:23]
	v_fmac_f64_e32 v[0:1], v[80:81], v[20:21]
	v_fma_f64 v[2:3], v[82:83], v[20:21], -v[2:3]
	ds_write_b128 v56, v[0:3] offset:640
	s_waitcnt vmcnt(13)
	v_mul_f64 v[0:1], v[86:87], v[26:27]
	v_mul_f64 v[2:3], v[84:85], v[26:27]
	v_fmac_f64_e32 v[0:1], v[84:85], v[24:25]
	v_fma_f64 v[2:3], v[86:87], v[24:25], -v[2:3]
	ds_write_b128 v56, v[0:3] offset:800
	s_waitcnt vmcnt(12)
	v_mul_f64 v[0:1], v[90:91], v[30:31]
	v_mul_f64 v[2:3], v[88:89], v[30:31]
	v_fmac_f64_e32 v[0:1], v[88:89], v[28:29]
	v_fma_f64 v[2:3], v[90:91], v[28:29], -v[2:3]
	ds_write_b128 v56, v[0:3] offset:960
	s_waitcnt vmcnt(11)
	v_mul_f64 v[0:1], v[94:95], v[34:35]
	v_mul_f64 v[2:3], v[92:93], v[34:35]
	v_fmac_f64_e32 v[0:1], v[92:93], v[32:33]
	v_fma_f64 v[2:3], v[94:95], v[32:33], -v[2:3]
	ds_write_b128 v56, v[0:3] offset:1120
	v_mul_f64 v[0:1], v[98:99], v[38:39]
	v_mul_f64 v[2:3], v[96:97], v[38:39]
	v_fmac_f64_e32 v[0:1], v[96:97], v[36:37]
	v_fma_f64 v[2:3], v[98:99], v[36:37], -v[2:3]
	ds_write_b128 v56, v[0:3] offset:1280
	s_waitcnt vmcnt(10)
	v_mul_f64 v[0:1], v[102:103], v[42:43]
	v_mul_f64 v[2:3], v[100:101], v[42:43]
	v_fmac_f64_e32 v[0:1], v[100:101], v[40:41]
	v_fma_f64 v[2:3], v[102:103], v[40:41], -v[2:3]
	ds_write_b128 v56, v[0:3] offset:1440
	s_waitcnt vmcnt(9)
	v_mul_f64 v[0:1], v[106:107], v[46:47]
	v_mul_f64 v[2:3], v[104:105], v[46:47]
	v_fmac_f64_e32 v[0:1], v[104:105], v[44:45]
	v_fma_f64 v[2:3], v[106:107], v[44:45], -v[2:3]
	ds_write_b128 v56, v[0:3] offset:1600
	s_waitcnt vmcnt(8)
	v_mul_f64 v[0:1], v[110:111], v[50:51]
	v_mul_f64 v[2:3], v[108:109], v[50:51]
	v_fmac_f64_e32 v[0:1], v[108:109], v[48:49]
	v_fma_f64 v[2:3], v[110:111], v[48:49], -v[2:3]
	ds_write_b128 v56, v[0:3] offset:1760
	s_waitcnt vmcnt(7)
	v_mul_f64 v[0:1], v[114:115], v[66:67]
	v_mul_f64 v[2:3], v[112:113], v[66:67]
	v_fmac_f64_e32 v[0:1], v[112:113], v[64:65]
	v_fma_f64 v[2:3], v[114:115], v[64:65], -v[2:3]
	ds_write_b128 v56, v[0:3] offset:1920
	s_waitcnt vmcnt(6)
	v_mul_f64 v[0:1], v[118:119], v[70:71]
	v_mul_f64 v[2:3], v[116:117], v[70:71]
	v_fmac_f64_e32 v[0:1], v[116:117], v[68:69]
	v_fma_f64 v[2:3], v[118:119], v[68:69], -v[2:3]
	ds_write_b128 v56, v[0:3] offset:2080
	s_waitcnt vmcnt(3)
	v_mul_f64 v[0:1], v[126:127], v[134:135]
	v_mul_f64 v[2:3], v[124:125], v[134:135]
	v_fmac_f64_e32 v[0:1], v[124:125], v[132:133]
	v_fma_f64 v[2:3], v[126:127], v[132:133], -v[2:3]
	ds_write_b128 v56, v[0:3] offset:2240
	s_waitcnt vmcnt(2)
	v_mul_f64 v[0:1], v[130:131], v[138:139]
	v_mul_f64 v[2:3], v[128:129], v[138:139]
	v_fmac_f64_e32 v[0:1], v[128:129], v[136:137]
	v_fma_f64 v[2:3], v[130:131], v[136:137], -v[2:3]
	ds_write_b128 v56, v[0:3] offset:2400
	s_waitcnt vmcnt(0)
	v_mul_f64 v[0:1], v[54:55], v[142:143]
	v_mul_f64 v[2:3], v[52:53], v[142:143]
	v_fmac_f64_e32 v[0:1], v[52:53], v[140:141]
	v_fma_f64 v[2:3], v[54:55], v[140:141], -v[2:3]
	ds_write_b128 v56, v[0:3] offset:2560
.LBB0_3:
	s_or_b64 exec, exec, s[2:3]
	s_load_dwordx2 s[2:3], s[0:1], 0x20
	s_load_dwordx2 s[4:5], s[0:1], 0x8
	s_waitcnt lgkmcnt(0)
	s_barrier
	s_waitcnt lgkmcnt(0)
                                        ; implicit-def: $vgpr28_vgpr29
                                        ; implicit-def: $vgpr32_vgpr33
                                        ; implicit-def: $vgpr36_vgpr37
                                        ; implicit-def: $vgpr40_vgpr41
                                        ; implicit-def: $vgpr44_vgpr45
                                        ; implicit-def: $vgpr48_vgpr49
                                        ; implicit-def: $vgpr52_vgpr53
                                        ; implicit-def: $vgpr56_vgpr57
                                        ; implicit-def: $vgpr60_vgpr61
                                        ; implicit-def: $vgpr64_vgpr65
                                        ; implicit-def: $vgpr68_vgpr69
                                        ; implicit-def: $vgpr72_vgpr73
                                        ; implicit-def: $vgpr76_vgpr77
                                        ; implicit-def: $vgpr80_vgpr81
                                        ; implicit-def: $vgpr84_vgpr85
                                        ; implicit-def: $vgpr88_vgpr89
                                        ; implicit-def: $vgpr92_vgpr93
	s_and_saveexec_b64 s[0:1], vcc
	s_cbranch_execz .LBB0_5
; %bb.4:
	v_lshl_add_u32 v0, v153, 4, v157
	ds_read_b128 v[28:31], v0
	ds_read_b128 v[32:35], v0 offset:160
	ds_read_b128 v[36:39], v0 offset:320
	;; [unrolled: 1-line block ×16, first 2 shown]
.LBB0_5:
	s_or_b64 exec, exec, s[0:1]
	s_mov_b32 s28, 0x5d8e7cdc
	s_waitcnt lgkmcnt(0)
	v_add_f64 v[96:97], v[34:35], -v[94:95]
	s_mov_b32 s0, 0x370991
	s_mov_b32 s29, 0xbfd71e95
	s_mov_b32 s30, 0x2a9d6da3
	v_add_f64 v[128:129], v[32:33], v[92:93]
	v_add_f64 v[100:101], v[32:33], -v[92:93]
	s_mov_b32 s1, 0x3fedd6d0
	v_mul_f64 v[14:15], v[96:97], s[28:29]
	s_mov_b32 s14, 0x75d4884
	s_mov_b32 s31, 0xbfe58eea
	v_add_f64 v[98:99], v[38:39], -v[90:91]
	v_add_f64 v[132:133], v[34:35], v[94:95]
	v_mul_f64 v[16:17], v[100:101], s[28:29]
	v_fma_f64 v[0:1], s[0:1], v[128:129], v[14:15]
	s_mov_b32 s15, 0x3fe7a5f6
	s_mov_b32 s34, 0x7c9e640b
	v_add_f64 v[140:141], v[36:37], v[88:89]
	v_add_f64 v[102:103], v[36:37], -v[88:89]
	v_mul_f64 v[18:19], v[98:99], s[30:31]
	v_add_f64 v[0:1], v[28:29], v[0:1]
	v_fma_f64 v[2:3], v[132:133], s[0:1], -v[16:17]
	s_mov_b32 s6, 0x2b2883cd
	s_mov_b32 s35, 0xbfeca52d
	v_add_f64 v[142:143], v[38:39], v[90:91]
	v_mul_f64 v[20:21], v[102:103], s[30:31]
	v_fma_f64 v[4:5], s[14:15], v[140:141], v[18:19]
	v_add_f64 v[106:107], v[42:43], -v[86:87]
	v_add_f64 v[2:3], v[30:31], v[2:3]
	s_mov_b32 s7, 0x3fdc86fa
	s_mov_b32 s24, 0xeb564b22
	v_add_f64 v[0:1], v[4:5], v[0:1]
	v_fma_f64 v[4:5], v[142:143], s[14:15], -v[20:21]
	v_add_f64 v[148:149], v[40:41], v[84:85]
	v_add_f64 v[104:105], v[40:41], -v[84:85]
	v_mul_f64 v[22:23], v[106:107], s[34:35]
	s_mov_b32 s16, 0x3259b75e
	s_mov_b32 s25, 0xbfefdd0d
	v_add_f64 v[2:3], v[4:5], v[2:3]
	v_add_f64 v[150:151], v[42:43], v[86:87]
	v_mul_f64 v[160:161], v[104:105], s[34:35]
	v_fma_f64 v[4:5], s[6:7], v[148:149], v[22:23]
	v_add_f64 v[110:111], v[46:47], -v[82:83]
	s_mov_b32 s17, 0x3fb79ee6
	v_add_f64 v[0:1], v[4:5], v[0:1]
	v_fma_f64 v[4:5], v[150:151], s[6:7], -v[160:161]
	v_add_f64 v[154:155], v[44:45], v[80:81]
	v_add_f64 v[108:109], v[44:45], -v[80:81]
	v_mul_f64 v[168:169], v[110:111], s[24:25]
	s_mov_b32 s26, 0x923c349f
	v_add_f64 v[2:3], v[4:5], v[2:3]
	v_add_f64 v[158:159], v[46:47], v[82:83]
	v_mul_f64 v[6:7], v[108:109], s[24:25]
	v_fma_f64 v[4:5], s[16:17], v[154:155], v[168:169]
	s_mov_b32 s27, 0xbfeec746
	v_add_f64 v[0:1], v[4:5], v[0:1]
	v_fma_f64 v[4:5], v[158:159], s[16:17], -v[6:7]
	v_add_f64 v[114:115], v[50:51], -v[78:79]
	s_mov_b32 s10, 0xc61f0d01
	v_add_f64 v[2:3], v[4:5], v[2:3]
	v_mul_f64 v[4:5], v[114:115], s[26:27]
	s_mov_b32 s11, 0xbfd183b1
	v_add_f64 v[164:165], v[48:49], v[76:77]
	v_accvgpr_write_b32 a35, v5
	v_accvgpr_write_b32 a34, v4
	v_fma_f64 v[4:5], s[10:11], v[164:165], v[4:5]
	v_add_f64 v[112:113], v[48:49], -v[76:77]
	v_add_f64 v[0:1], v[4:5], v[0:1]
	v_mul_f64 v[4:5], v[112:113], s[26:27]
	v_add_f64 v[166:167], v[50:51], v[78:79]
	v_accvgpr_write_b32 a37, v5
	s_mov_b32 s38, 0x6c9a05f6
	v_accvgpr_write_b32 a36, v4
	v_fma_f64 v[4:5], v[166:167], s[10:11], -v[4:5]
	s_mov_b32 s39, 0xbfe9895b
	v_add_f64 v[130:131], v[54:55], -v[74:75]
	v_add_f64 v[2:3], v[4:5], v[2:3]
	s_mov_b32 s18, 0x6ed5f1bb
	v_mul_f64 v[4:5], v[130:131], s[38:39]
	s_mov_b32 s19, 0xbfe348c8
	v_add_f64 v[170:171], v[52:53], v[72:73]
	v_accvgpr_write_b32 a39, v5
	v_accvgpr_write_b32 a38, v4
	v_fma_f64 v[4:5], s[18:19], v[170:171], v[4:5]
	v_add_f64 v[254:255], v[52:53], -v[72:73]
	v_add_f64 v[0:1], v[4:5], v[0:1]
	v_mul_f64 v[4:5], v[254:255], s[38:39]
	v_add_f64 v[172:173], v[54:55], v[74:75]
	v_accvgpr_write_b32 a41, v5
	s_mov_b32 s40, 0x4363dd80
	v_accvgpr_write_b32 a40, v4
	v_fma_f64 v[4:5], v[172:173], s[18:19], -v[4:5]
	s_mov_b32 s41, 0xbfe0d888
	v_add_f64 v[174:175], v[58:59], -v[70:71]
	v_add_f64 v[2:3], v[4:5], v[2:3]
	s_mov_b32 s20, 0x910ea3b9
	;; [unrolled: 18-line block ×3, first 2 shown]
	v_mul_f64 v[4:5], v[196:197], s[42:43]
	s_mov_b32 s23, 0xbfef7484
	v_add_f64 v[192:193], v[60:61], v[64:65]
	v_accvgpr_write_b32 a47, v5
	v_accvgpr_write_b32 a46, v4
	v_fma_f64 v[4:5], s[22:23], v[192:193], v[4:5]
	v_add_f64 v[194:195], v[60:61], -v[64:65]
	v_add_f64 v[4:5], v[4:5], v[0:1]
	v_mul_f64 v[0:1], v[194:195], s[42:43]
	v_add_f64 v[200:201], v[62:63], v[66:67]
	v_accvgpr_write_b32 a49, v1
	v_accvgpr_write_b32 a33, v7
	;; [unrolled: 1-line block ×3, first 2 shown]
	v_fma_f64 v[0:1], v[200:201], s[22:23], -v[0:1]
	v_accvgpr_write_b32 a32, v6
	v_add_f64 v[6:7], v[0:1], v[2:3]
	v_mul_f64 v[0:1], v[96:97], s[30:31]
	v_accvgpr_write_b32 a51, v1
	v_mul_f64 v[2:3], v[98:99], s[24:25]
	v_accvgpr_write_b32 a50, v0
	v_fma_f64 v[0:1], s[14:15], v[128:129], v[0:1]
	v_accvgpr_write_b32 a53, v3
	v_add_f64 v[0:1], v[28:29], v[0:1]
	v_accvgpr_write_b32 a52, v2
	v_fma_f64 v[2:3], s[16:17], v[140:141], v[2:3]
	v_accvgpr_write_b32 a2, v4
	v_add_f64 v[0:1], v[2:3], v[0:1]
	v_mul_f64 v[2:3], v[100:101], s[30:31]
	v_accvgpr_write_b32 a3, v5
	v_accvgpr_write_b32 a4, v6
	;; [unrolled: 1-line block ×4, first 2 shown]
	v_mul_f64 v[4:5], v[102:103], s[24:25]
	v_accvgpr_write_b32 a58, v2
	v_fma_f64 v[2:3], v[132:133], s[14:15], -v[2:3]
	v_accvgpr_write_b32 a61, v5
	v_add_f64 v[2:3], v[30:31], v[2:3]
	v_accvgpr_write_b32 a60, v4
	v_fma_f64 v[4:5], v[142:143], s[16:17], -v[4:5]
	v_add_f64 v[2:3], v[4:5], v[2:3]
	v_mul_f64 v[4:5], v[106:107], s[38:39]
	v_accvgpr_write_b32 a55, v5
	v_accvgpr_write_b32 a54, v4
	v_fma_f64 v[4:5], s[18:19], v[148:149], v[4:5]
	v_add_f64 v[0:1], v[4:5], v[0:1]
	v_mul_f64 v[4:5], v[104:105], s[38:39]
	v_accvgpr_write_b32 a65, v5
	v_accvgpr_write_b32 a64, v4
	v_fma_f64 v[4:5], v[150:151], s[18:19], -v[4:5]
	v_add_f64 v[2:3], v[4:5], v[2:3]
	v_mul_f64 v[4:5], v[110:111], s[42:43]
	v_accvgpr_write_b32 a57, v5
	v_accvgpr_write_b32 a56, v4
	v_fma_f64 v[4:5], s[22:23], v[154:155], v[4:5]
	v_add_f64 v[0:1], v[4:5], v[0:1]
	v_mul_f64 v[4:5], v[108:109], s[42:43]
	v_accvgpr_write_b32 a69, v5
	v_accvgpr_write_b32 a68, v4
	v_fma_f64 v[4:5], v[158:159], s[22:23], -v[4:5]
	s_mov_b32 s53, 0x3fe0d888
	s_mov_b32 s52, s40
	v_add_f64 v[2:3], v[4:5], v[2:3]
	v_mul_f64 v[4:5], v[114:115], s[52:53]
	v_accvgpr_write_b32 a63, v5
	v_accvgpr_write_b32 a62, v4
	v_fma_f64 v[4:5], s[20:21], v[164:165], v[4:5]
	v_add_f64 v[0:1], v[4:5], v[0:1]
	v_mul_f64 v[4:5], v[112:113], s[52:53]
	v_accvgpr_write_b32 a73, v5
	v_accvgpr_write_b32 a72, v4
	v_fma_f64 v[4:5], v[166:167], s[20:21], -v[4:5]
	s_mov_b32 s51, 0x3feec746
	s_mov_b32 s50, s26
	;; [unrolled: 12-line block ×4, first 2 shown]
	v_add_f64 v[2:3], v[4:5], v[2:3]
	v_mul_f64 v[4:5], v[196:197], s[46:47]
	v_accvgpr_write_b32 a75, v5
	v_accvgpr_write_b32 a74, v4
	v_fma_f64 v[4:5], s[0:1], v[192:193], v[4:5]
	v_add_f64 v[4:5], v[4:5], v[0:1]
	v_mul_f64 v[0:1], v[194:195], s[46:47]
	v_accvgpr_write_b32 a81, v1
	v_accvgpr_write_b32 a80, v0
	v_fma_f64 v[0:1], v[200:201], s[0:1], -v[0:1]
	v_add_f64 v[6:7], v[0:1], v[2:3]
	v_mul_f64 v[0:1], v[96:97], s[34:35]
	v_accvgpr_write_b32 a83, v1
	v_mul_f64 v[2:3], v[98:99], s[38:39]
	v_accvgpr_write_b32 a82, v0
	v_fma_f64 v[0:1], s[6:7], v[128:129], v[0:1]
	v_accvgpr_write_b32 a85, v3
	v_add_f64 v[0:1], v[28:29], v[0:1]
	v_accvgpr_write_b32 a84, v2
	v_fma_f64 v[2:3], s[18:19], v[140:141], v[2:3]
	v_accvgpr_write_b32 a9, v7
	v_add_f64 v[0:1], v[2:3], v[0:1]
	v_mul_f64 v[2:3], v[100:101], s[34:35]
	v_accvgpr_write_b32 a8, v6
	v_accvgpr_write_b32 a7, v5
	;; [unrolled: 1-line block ×4, first 2 shown]
	v_mul_f64 v[4:5], v[102:103], s[38:39]
	v_accvgpr_write_b32 a96, v2
	v_fma_f64 v[2:3], v[132:133], s[6:7], -v[2:3]
	v_accvgpr_write_b32 a99, v5
	v_add_f64 v[2:3], v[30:31], v[2:3]
	v_accvgpr_write_b32 a98, v4
	v_fma_f64 v[4:5], v[142:143], s[18:19], -v[4:5]
	s_mov_b32 s55, 0x3fc7851a
	s_mov_b32 s54, s42
	v_add_f64 v[2:3], v[4:5], v[2:3]
	v_mul_f64 v[4:5], v[106:107], s[54:55]
	v_accvgpr_write_b32 a87, v5
	v_accvgpr_write_b32 a86, v4
	v_fma_f64 v[4:5], s[22:23], v[148:149], v[4:5]
	v_add_f64 v[0:1], v[4:5], v[0:1]
	v_mul_f64 v[4:5], v[104:105], s[54:55]
	v_accvgpr_write_b32 a103, v5
	v_accvgpr_write_b32 a102, v4
	v_fma_f64 v[4:5], v[150:151], s[22:23], -v[4:5]
	v_add_f64 v[2:3], v[4:5], v[2:3]
	v_mul_f64 v[4:5], v[110:111], s[50:51]
	v_accvgpr_write_b32 a89, v5
	v_accvgpr_write_b32 a88, v4
	v_fma_f64 v[4:5], s[10:11], v[154:155], v[4:5]
	v_add_f64 v[0:1], v[4:5], v[0:1]
	v_mul_f64 v[4:5], v[108:109], s[50:51]
	v_accvgpr_write_b32 a105, v5
	v_accvgpr_write_b32 a104, v4
	v_fma_f64 v[4:5], v[158:159], s[10:11], -v[4:5]
	s_mov_b32 s49, 0x3fe58eea
	s_mov_b32 s48, s30
	v_add_f64 v[2:3], v[4:5], v[2:3]
	v_mul_f64 v[4:5], v[114:115], s[48:49]
	v_accvgpr_write_b32 a91, v5
	v_accvgpr_write_b32 a90, v4
	v_fma_f64 v[4:5], s[14:15], v[164:165], v[4:5]
	v_add_f64 v[0:1], v[4:5], v[0:1]
	v_mul_f64 v[4:5], v[112:113], s[48:49]
	v_accvgpr_write_b32 a107, v5
	v_accvgpr_write_b32 a106, v4
	v_fma_f64 v[4:5], v[166:167], s[14:15], -v[4:5]
	v_add_f64 v[2:3], v[4:5], v[2:3]
	v_mul_f64 v[4:5], v[130:131], s[28:29]
	v_accvgpr_write_b32 a93, v5
	v_accvgpr_write_b32 a92, v4
	v_fma_f64 v[4:5], s[0:1], v[170:171], v[4:5]
	v_add_f64 v[0:1], v[4:5], v[0:1]
	v_mul_f64 v[4:5], v[254:255], s[28:29]
	v_accvgpr_write_b32 a109, v5
	v_accvgpr_write_b32 a108, v4
	v_fma_f64 v[4:5], v[172:173], s[0:1], -v[4:5]
	v_add_f64 v[2:3], v[4:5], v[2:3]
	v_mul_f64 v[4:5], v[174:175], s[24:25]
	v_accvgpr_write_b32 a95, v5
	v_accvgpr_write_b32 a94, v4
	v_fma_f64 v[4:5], s[16:17], v[178:179], v[4:5]
	v_add_f64 v[0:1], v[4:5], v[0:1]
	v_mul_f64 v[4:5], v[162:163], s[24:25]
	v_accvgpr_write_b32 a111, v5
	v_accvgpr_write_b32 a110, v4
	v_fma_f64 v[4:5], v[180:181], s[16:17], -v[4:5]
	v_add_f64 v[2:3], v[4:5], v[2:3]
	v_mul_f64 v[4:5], v[196:197], s[40:41]
	v_accvgpr_write_b32 a101, v5
	v_accvgpr_write_b32 a100, v4
	v_fma_f64 v[4:5], s[20:21], v[192:193], v[4:5]
	v_add_f64 v[4:5], v[4:5], v[0:1]
	v_mul_f64 v[0:1], v[194:195], s[40:41]
	v_accvgpr_write_b32 a113, v1
	v_accvgpr_write_b32 a112, v0
	v_fma_f64 v[0:1], v[200:201], s[20:21], -v[0:1]
	v_add_f64 v[6:7], v[0:1], v[2:3]
	v_mul_f64 v[0:1], v[96:97], s[24:25]
	v_accvgpr_write_b32 a115, v1
	v_mul_f64 v[2:3], v[98:99], s[42:43]
	v_accvgpr_write_b32 a114, v0
	v_fma_f64 v[0:1], s[16:17], v[128:129], v[0:1]
	v_accvgpr_write_b32 a117, v3
	v_add_f64 v[0:1], v[28:29], v[0:1]
	v_accvgpr_write_b32 a116, v2
	v_fma_f64 v[2:3], s[22:23], v[140:141], v[2:3]
	v_accvgpr_write_b32 a13, v7
	v_add_f64 v[0:1], v[2:3], v[0:1]
	v_mul_f64 v[2:3], v[100:101], s[24:25]
	v_accvgpr_write_b32 a12, v6
	v_accvgpr_write_b32 a11, v5
	v_accvgpr_write_b32 a10, v4
	v_accvgpr_write_b32 a123, v3
	v_mul_f64 v[4:5], v[102:103], s[42:43]
	v_accvgpr_write_b32 a122, v2
	v_fma_f64 v[2:3], v[132:133], s[16:17], -v[2:3]
	v_accvgpr_write_b32 a127, v5
	v_add_f64 v[2:3], v[30:31], v[2:3]
	v_accvgpr_write_b32 a126, v4
	v_fma_f64 v[4:5], v[142:143], s[22:23], -v[4:5]
	v_add_f64 v[2:3], v[4:5], v[2:3]
	v_mul_f64 v[4:5], v[106:107], s[50:51]
	v_accvgpr_write_b32 a119, v5
	v_accvgpr_write_b32 a118, v4
	v_fma_f64 v[4:5], s[10:11], v[148:149], v[4:5]
	v_add_f64 v[0:1], v[4:5], v[0:1]
	v_mul_f64 v[4:5], v[104:105], s[50:51]
	v_accvgpr_write_b32 a131, v5
	v_accvgpr_write_b32 a130, v4
	v_fma_f64 v[4:5], v[150:151], s[10:11], -v[4:5]
	v_add_f64 v[2:3], v[4:5], v[2:3]
	v_mul_f64 v[4:5], v[110:111], s[46:47]
	v_accvgpr_write_b32 a121, v5
	v_accvgpr_write_b32 a120, v4
	v_fma_f64 v[4:5], s[0:1], v[154:155], v[4:5]
	v_add_f64 v[0:1], v[4:5], v[0:1]
	v_mul_f64 v[4:5], v[108:109], s[46:47]
	v_accvgpr_write_b32 a135, v5
	;; [unrolled: 10-line block ×4, first 2 shown]
	v_accvgpr_write_b32 a140, v4
	v_fma_f64 v[4:5], v[172:173], s[20:21], -v[4:5]
	s_mov_b32 s59, 0x3fe9895b
	s_mov_b32 s58, s38
	v_add_f64 v[2:3], v[4:5], v[2:3]
	v_mul_f64 v[4:5], v[174:175], s[58:59]
	v_accvgpr_write_b32 a133, v5
	v_accvgpr_write_b32 a132, v4
	v_fma_f64 v[4:5], s[18:19], v[178:179], v[4:5]
	v_add_f64 v[0:1], v[4:5], v[0:1]
	v_mul_f64 v[4:5], v[162:163], s[58:59]
	v_accvgpr_write_b32 a143, v5
	v_accvgpr_write_b32 a142, v4
	v_fma_f64 v[4:5], v[180:181], s[18:19], -v[4:5]
	v_add_f64 v[2:3], v[4:5], v[2:3]
	v_mul_f64 v[4:5], v[196:197], s[48:49]
	v_accvgpr_write_b32 a137, v5
	v_accvgpr_write_b32 a136, v4
	v_fma_f64 v[4:5], s[14:15], v[192:193], v[4:5]
	v_add_f64 v[4:5], v[4:5], v[0:1]
	v_mul_f64 v[0:1], v[194:195], s[48:49]
	v_accvgpr_write_b32 a145, v1
	v_accvgpr_write_b32 a144, v0
	v_fma_f64 v[0:1], v[200:201], s[14:15], -v[0:1]
	v_mul_f64 v[176:177], v[96:97], s[26:27]
	v_add_f64 v[6:7], v[0:1], v[2:3]
	v_fma_f64 v[0:1], s[10:11], v[128:129], v[176:177]
	v_mul_f64 v[182:183], v[98:99], s[52:53]
	v_add_f64 v[0:1], v[28:29], v[0:1]
	v_fma_f64 v[2:3], s[20:21], v[140:141], v[182:183]
	v_mul_f64 v[188:189], v[100:101], s[26:27]
	v_accvgpr_write_b32 a17, v7
	v_add_f64 v[0:1], v[2:3], v[0:1]
	v_fma_f64 v[2:3], v[132:133], s[10:11], -v[188:189]
	v_mul_f64 v[198:199], v[102:103], s[52:53]
	v_accvgpr_write_b32 a16, v6
	v_accvgpr_write_b32 a15, v5
	;; [unrolled: 1-line block ×3, first 2 shown]
	v_add_f64 v[2:3], v[30:31], v[2:3]
	v_fma_f64 v[4:5], v[142:143], s[20:21], -v[198:199]
	v_mul_f64 v[184:185], v[106:107], s[48:49]
	v_add_f64 v[2:3], v[4:5], v[2:3]
	v_fma_f64 v[4:5], s[14:15], v[148:149], v[184:185]
	v_mul_f64 v[204:205], v[104:105], s[48:49]
	v_add_f64 v[0:1], v[4:5], v[0:1]
	v_fma_f64 v[4:5], v[150:151], s[14:15], -v[204:205]
	v_mul_f64 v[186:187], v[110:111], s[34:35]
	v_add_f64 v[2:3], v[4:5], v[2:3]
	v_fma_f64 v[4:5], s[6:7], v[154:155], v[186:187]
	v_mul_f64 v[208:209], v[108:109], s[34:35]
	v_add_f64 v[0:1], v[4:5], v[0:1]
	v_fma_f64 v[4:5], v[158:159], s[6:7], -v[208:209]
	v_mul_f64 v[190:191], v[114:115], s[42:43]
	v_add_f64 v[2:3], v[4:5], v[2:3]
	v_fma_f64 v[4:5], s[22:23], v[164:165], v[190:191]
	v_mul_f64 v[212:213], v[112:113], s[42:43]
	s_mov_b32 s57, 0x3fefdd0d
	s_mov_b32 s56, s24
	v_add_f64 v[0:1], v[4:5], v[0:1]
	v_fma_f64 v[4:5], v[166:167], s[22:23], -v[212:213]
	v_mul_f64 v[202:203], v[130:131], s[56:57]
	v_add_f64 v[2:3], v[4:5], v[2:3]
	v_fma_f64 v[4:5], s[16:17], v[170:171], v[202:203]
	v_mul_f64 v[214:215], v[254:255], s[56:57]
	v_add_f64 v[0:1], v[4:5], v[0:1]
	v_fma_f64 v[4:5], v[172:173], s[16:17], -v[214:215]
	v_mul_f64 v[206:207], v[174:175], s[28:29]
	v_add_f64 v[2:3], v[4:5], v[2:3]
	v_fma_f64 v[4:5], s[0:1], v[178:179], v[206:207]
	v_mul_f64 v[216:217], v[162:163], s[28:29]
	;; [unrolled: 6-line block ×4, first 2 shown]
	v_add_f64 v[0:1], v[28:29], v[0:1]
	v_fma_f64 v[2:3], s[10:11], v[140:141], v[222:223]
	v_mul_f64 v[228:229], v[100:101], s[38:39]
	v_accvgpr_write_b32 a23, v7
	v_add_f64 v[0:1], v[2:3], v[0:1]
	v_fma_f64 v[2:3], v[132:133], s[18:19], -v[228:229]
	v_mul_f64 v[232:233], v[102:103], s[50:51]
	v_accvgpr_write_b32 a22, v6
	v_accvgpr_write_b32 a21, v5
	;; [unrolled: 1-line block ×3, first 2 shown]
	v_add_f64 v[2:3], v[30:31], v[2:3]
	v_fma_f64 v[4:5], v[142:143], s[10:11], -v[232:233]
	v_mul_f64 v[224:225], v[106:107], s[28:29]
	v_add_f64 v[2:3], v[4:5], v[2:3]
	v_fma_f64 v[4:5], s[0:1], v[148:149], v[224:225]
	v_mul_f64 v[236:237], v[104:105], s[28:29]
	v_add_f64 v[0:1], v[4:5], v[0:1]
	v_fma_f64 v[4:5], v[150:151], s[0:1], -v[236:237]
	v_mul_f64 v[226:227], v[110:111], s[40:41]
	v_add_f64 v[2:3], v[4:5], v[2:3]
	v_fma_f64 v[4:5], s[20:21], v[154:155], v[226:227]
	v_mul_f64 v[240:241], v[108:109], s[40:41]
	;; [unrolled: 6-line block ×7, first 2 shown]
	v_add_f64 v[0:1], v[28:29], v[0:1]
	v_fma_f64 v[2:3], s[6:7], v[140:141], v[250:251]
	v_mul_f64 v[122:123], v[100:101], s[40:41]
	v_accvgpr_write_b32 a27, v7
	v_add_f64 v[0:1], v[2:3], v[0:1]
	v_fma_f64 v[2:3], v[132:133], s[20:21], -v[122:123]
	v_mul_f64 v[126:127], v[102:103], s[44:45]
	v_accvgpr_write_b32 a26, v6
	v_accvgpr_write_b32 a25, v5
	;; [unrolled: 1-line block ×3, first 2 shown]
	v_add_f64 v[2:3], v[30:31], v[2:3]
	v_fma_f64 v[4:5], v[142:143], s[6:7], -v[126:127]
	v_mul_f64 v[252:253], v[106:107], s[24:25]
	v_add_f64 v[2:3], v[4:5], v[2:3]
	v_fma_f64 v[4:5], s[16:17], v[148:149], v[252:253]
	v_mul_f64 v[136:137], v[104:105], s[24:25]
	v_add_f64 v[0:1], v[4:5], v[0:1]
	v_fma_f64 v[4:5], v[150:151], s[16:17], -v[136:137]
	v_mul_f64 v[120:121], v[110:111], s[58:59]
	v_add_f64 v[4:5], v[4:5], v[2:3]
	v_fma_f64 v[2:3], s[18:19], v[154:155], v[120:121]
	v_add_f64 v[0:1], v[2:3], v[0:1]
	v_mul_f64 v[2:3], v[108:109], s[58:59]
	v_fma_f64 v[6:7], v[158:159], s[18:19], -v[2:3]
	v_mul_f64 v[124:125], v[114:115], s[28:29]
	v_add_f64 v[4:5], v[6:7], v[4:5]
	v_fma_f64 v[6:7], s[0:1], v[164:165], v[124:125]
	v_mul_f64 v[144:145], v[112:113], s[28:29]
	v_add_f64 v[0:1], v[6:7], v[0:1]
	v_fma_f64 v[6:7], v[166:167], s[0:1], -v[144:145]
	v_mul_f64 v[134:135], v[130:131], s[42:43]
	v_add_f64 v[6:7], v[6:7], v[4:5]
	v_fma_f64 v[4:5], s[22:23], v[170:171], v[134:135]
	v_add_f64 v[24:25], v[4:5], v[0:1]
	v_mul_f64 v[4:5], v[254:255], s[42:43]
	v_fma_f64 v[0:1], v[172:173], s[22:23], -v[4:5]
	v_add_f64 v[26:27], v[0:1], v[6:7]
	v_mul_f64 v[0:1], v[174:175], s[48:49]
	v_fma_f64 v[6:7], s[14:15], v[178:179], v[0:1]
	v_add_f64 v[24:25], v[6:7], v[24:25]
	v_mul_f64 v[6:7], v[162:163], s[48:49]
	v_fma_f64 v[138:139], v[180:181], s[14:15], -v[6:7]
	v_add_f64 v[26:27], v[138:139], v[26:27]
	v_mul_f64 v[138:139], v[196:197], s[26:27]
	v_fma_f64 v[146:147], s[10:11], v[192:193], v[138:139]
	v_add_f64 v[10:11], v[146:147], v[24:25]
	v_mul_f64 v[146:147], v[194:195], s[26:27]
	v_fma_f64 v[8:9], v[200:201], s[10:11], -v[146:147]
	v_add_f64 v[12:13], v[8:9], v[26:27]
	v_accvgpr_write_b32 a31, v13
	v_mul_lo_u16_e32 v8, 17, v152
	v_accvgpr_write_b32 a30, v12
	v_accvgpr_write_b32 a29, v11
	;; [unrolled: 1-line block ×4, first 2 shown]
	s_barrier
	s_mov_b64 s[36:37], exec
	s_and_b64 s[60:61], s[36:37], vcc
	v_accvgpr_write_b32 a0, v152
	s_mov_b64 exec, s[60:61]
	s_cbranch_execz .LBB0_7
; %bb.6:
	v_mul_f64 v[8:9], v[132:133], s[22:23]
	v_fma_f64 v[10:11], s[54:55], v[100:101], v[8:9]
	v_accvgpr_write_b32 a19, v153
	v_mul_f64 v[152:153], v[142:143], s[0:1]
	v_add_f64 v[10:11], v[30:31], v[10:11]
	v_fma_f64 v[12:13], s[28:29], v[102:103], v[152:153]
	v_add_f64 v[10:11], v[12:13], v[10:11]
	v_mul_f64 v[12:13], v[150:151], s[20:21]
	v_accvgpr_write_b32 a147, v15
	v_accvgpr_write_b32 a146, v14
	v_fma_f64 v[14:15], s[52:53], v[104:105], v[12:13]
	v_add_f64 v[10:11], v[14:15], v[10:11]
	v_mul_f64 v[14:15], v[158:159], s[14:15]
	v_accvgpr_write_b32 a152, v160
	v_accvgpr_write_b32 a153, v161
	;; [unrolled: 5-line block ×3, first 2 shown]
	v_fma_f64 v[16:17], s[58:59], v[112:113], v[160:161]
	v_add_f64 v[10:11], v[16:17], v[10:11]
	v_mul_f64 v[16:17], v[172:173], s[6:7]
	v_accvgpr_write_b32 a149, v19
	v_fmac_f64_e32 v[8:9], s[42:43], v[100:101]
	v_accvgpr_write_b32 a148, v18
	v_fma_f64 v[18:19], s[34:35], v[254:255], v[16:17]
	v_fmac_f64_e32 v[152:153], s[46:47], v[102:103]
	v_add_f64 v[8:9], v[30:31], v[8:9]
	v_add_f64 v[10:11], v[18:19], v[10:11]
	v_mul_f64 v[18:19], v[180:181], s[10:11]
	v_accvgpr_write_b32 a150, v168
	v_accvgpr_write_b32 a159, v21
	v_fmac_f64_e32 v[12:13], s[40:41], v[104:105]
	v_add_f64 v[8:9], v[152:153], v[8:9]
	v_accvgpr_write_b32 a151, v169
	v_fma_f64 v[168:169], s[50:51], v[162:163], v[18:19]
	v_accvgpr_write_b32 a158, v20
	v_mul_f64 v[20:21], v[96:97], s[42:43]
	v_fmac_f64_e32 v[14:15], s[48:49], v[108:109]
	v_add_f64 v[8:9], v[12:13], v[8:9]
	v_add_f64 v[10:11], v[168:169], v[10:11]
	v_mul_f64 v[168:169], v[98:99], s[46:47]
	v_add_f64 v[8:9], v[14:15], v[8:9]
	v_fma_f64 v[14:15], v[128:129], s[22:23], -v[20:21]
	v_mul_f64 v[106:107], v[106:107], s[40:41]
	v_fma_f64 v[12:13], v[140:141], s[0:1], -v[168:169]
	v_add_f64 v[14:15], v[28:29], v[14:15]
	v_mul_f64 v[110:111], v[110:111], s[48:49]
	v_add_f64 v[12:13], v[12:13], v[14:15]
	v_fma_f64 v[14:15], v[148:149], s[20:21], -v[106:107]
	v_mul_f64 v[114:115], v[114:115], s[38:39]
	v_fmac_f64_e32 v[160:161], s[38:39], v[112:113]
	v_add_f64 v[12:13], v[14:15], v[12:13]
	v_fma_f64 v[14:15], v[154:155], s[14:15], -v[110:111]
	v_mul_f64 v[130:131], v[130:131], s[44:45]
	v_mul_f64 v[24:25], v[200:201], s[16:17]
	v_fmac_f64_e32 v[16:17], s[44:45], v[254:255]
	v_add_f64 v[8:9], v[160:161], v[8:9]
	v_add_f64 v[12:13], v[14:15], v[12:13]
	v_fma_f64 v[14:15], v[164:165], s[18:19], -v[114:115]
	v_mul_f64 v[174:175], v[174:175], s[26:27]
	v_fma_f64 v[26:27], s[24:25], v[194:195], v[24:25]
	v_fmac_f64_e32 v[18:19], s[26:27], v[162:163]
	v_add_f64 v[8:9], v[16:17], v[8:9]
	v_add_f64 v[12:13], v[14:15], v[12:13]
	v_fma_f64 v[14:15], v[170:171], s[6:7], -v[130:131]
	v_add_f64 v[98:99], v[26:27], v[10:11]
	v_mul_f64 v[10:11], v[196:197], s[56:57]
	v_fmac_f64_e32 v[24:25], s[56:57], v[194:195]
	v_add_f64 v[8:9], v[18:19], v[8:9]
	v_add_f64 v[12:13], v[14:15], v[12:13]
	v_fma_f64 v[14:15], v[178:179], s[10:11], -v[174:175]
	v_add_f64 v[12:13], v[14:15], v[12:13]
	v_add_f64 v[102:103], v[24:25], v[8:9]
	v_fma_f64 v[8:9], v[192:193], s[16:17], -v[10:11]
	v_mul_f64 v[16:17], v[132:133], s[20:21]
	v_add_f64 v[100:101], v[8:9], v[12:13]
	v_mul_f64 v[12:13], v[158:159], s[18:19]
	v_mul_f64 v[14:15], v[142:143], s[6:7]
	v_add_f64 v[16:17], v[122:123], v[16:17]
	v_fma_f64 v[26:27], s[16:17], v[192:193], v[10:11]
	v_mul_f64 v[10:11], v[180:181], s[14:15]
	v_add_f64 v[2:3], v[2:3], v[12:13]
	v_mul_f64 v[12:13], v[150:151], s[16:17]
	v_add_f64 v[14:15], v[126:127], v[14:15]
	v_add_f64 v[16:17], v[30:31], v[16:17]
	v_add_f64 v[6:7], v[6:7], v[10:11]
	v_mul_f64 v[10:11], v[172:173], s[22:23]
	v_add_f64 v[12:13], v[136:137], v[12:13]
	v_add_f64 v[14:15], v[14:15], v[16:17]
	v_add_f64 v[4:5], v[4:5], v[10:11]
	v_mul_f64 v[10:11], v[166:167], s[0:1]
	v_add_f64 v[12:13], v[12:13], v[14:15]
	v_mul_f64 v[18:19], v[128:129], s[20:21]
	v_add_f64 v[10:11], v[144:145], v[10:11]
	v_add_f64 v[2:3], v[2:3], v[12:13]
	v_mul_f64 v[16:17], v[140:141], s[6:7]
	v_add_f64 v[18:19], v[18:19], -v[118:119]
	v_add_f64 v[2:3], v[10:11], v[2:3]
	v_mul_f64 v[14:15], v[148:149], s[16:17]
	v_add_f64 v[16:17], v[16:17], -v[250:251]
	v_add_f64 v[18:19], v[28:29], v[18:19]
	v_add_f64 v[2:3], v[4:5], v[2:3]
	v_mul_f64 v[12:13], v[154:155], s[18:19]
	v_add_f64 v[14:15], v[14:15], -v[252:253]
	v_add_f64 v[16:17], v[16:17], v[18:19]
	v_add_f64 v[2:3], v[6:7], v[2:3]
	v_mul_f64 v[6:7], v[178:179], s[14:15]
	v_mul_f64 v[10:11], v[164:165], s[0:1]
	v_add_f64 v[12:13], v[12:13], -v[120:121]
	v_add_f64 v[14:15], v[14:15], v[16:17]
	v_accvgpr_write_b32 a157, v23
	v_add_f64 v[0:1], v[6:7], -v[0:1]
	v_mul_f64 v[6:7], v[170:171], s[22:23]
	v_add_f64 v[10:11], v[10:11], -v[124:125]
	v_add_f64 v[12:13], v[12:13], v[14:15]
	v_mul_f64 v[14:15], v[132:133], s[18:19]
	v_accvgpr_write_b32 a156, v22
	v_fma_f64 v[22:23], s[22:23], v[128:129], v[20:21]
	v_mul_f64 v[8:9], v[200:201], s[10:11]
	v_add_f64 v[6:7], v[6:7], -v[134:135]
	v_add_f64 v[10:11], v[10:11], v[12:13]
	v_mul_f64 v[12:13], v[142:143], s[10:11]
	v_add_f64 v[14:15], v[228:229], v[14:15]
	v_mul_f64 v[18:19], v[128:129], s[18:19]
	v_add_f64 v[22:23], v[28:29], v[22:23]
	v_fma_f64 v[96:97], s[0:1], v[140:141], v[168:169]
	v_add_f64 v[8:9], v[146:147], v[8:9]
	v_add_f64 v[6:7], v[6:7], v[10:11]
	v_mul_f64 v[10:11], v[150:151], s[0:1]
	v_add_f64 v[12:13], v[232:233], v[12:13]
	v_add_f64 v[14:15], v[30:31], v[14:15]
	v_mul_f64 v[16:17], v[140:141], s[10:11]
	v_add_f64 v[18:19], v[18:19], -v[220:221]
	v_add_f64 v[22:23], v[96:97], v[22:23]
	v_fma_f64 v[96:97], s[20:21], v[148:149], v[106:107]
	v_mul_f64 v[4:5], v[192:193], s[10:11]
	v_add_f64 v[106:107], v[8:9], v[2:3]
	v_mul_f64 v[8:9], v[158:159], s[20:21]
	v_add_f64 v[10:11], v[236:237], v[10:11]
	v_add_f64 v[12:13], v[12:13], v[14:15]
	v_mul_f64 v[14:15], v[148:149], s[0:1]
	v_add_f64 v[16:17], v[16:17], -v[222:223]
	v_add_f64 v[18:19], v[28:29], v[18:19]
	v_add_f64 v[4:5], v[4:5], -v[138:139]
	v_add_f64 v[0:1], v[0:1], v[6:7]
	v_mul_f64 v[6:7], v[166:167], s[16:17]
	v_add_f64 v[8:9], v[240:241], v[8:9]
	v_add_f64 v[10:11], v[10:11], v[12:13]
	v_mul_f64 v[12:13], v[154:155], s[20:21]
	v_add_f64 v[14:15], v[14:15], -v[224:225]
	v_add_f64 v[16:17], v[16:17], v[18:19]
	v_add_f64 v[104:105], v[4:5], v[0:1]
	v_mul_f64 v[4:5], v[172:173], s[14:15]
	v_add_f64 v[6:7], v[244:245], v[6:7]
	v_add_f64 v[8:9], v[8:9], v[10:11]
	v_mul_f64 v[10:11], v[164:165], s[16:17]
	v_add_f64 v[12:13], v[12:13], -v[226:227]
	v_add_f64 v[14:15], v[14:15], v[16:17]
	v_mul_f64 v[2:3], v[180:181], s[22:23]
	v_add_f64 v[4:5], v[246:247], v[4:5]
	v_add_f64 v[6:7], v[6:7], v[8:9]
	v_mul_f64 v[8:9], v[170:171], s[14:15]
	v_add_f64 v[10:11], v[10:11], -v[230:231]
	;; [unrolled: 6-line block ×3, first 2 shown]
	v_add_f64 v[10:11], v[10:11], v[12:13]
	v_mul_f64 v[12:13], v[142:143], s[20:21]
	v_add_f64 v[14:15], v[188:189], v[14:15]
	v_mul_f64 v[18:19], v[128:129], s[10:11]
	v_add_f64 v[2:3], v[2:3], v[4:5]
	v_mul_f64 v[4:5], v[192:193], s[6:7]
	v_add_f64 v[6:7], v[6:7], -v[238:239]
	v_add_f64 v[8:9], v[8:9], v[10:11]
	v_mul_f64 v[10:11], v[150:151], s[14:15]
	v_add_f64 v[12:13], v[198:199], v[12:13]
	v_add_f64 v[14:15], v[30:31], v[14:15]
	v_mul_f64 v[16:17], v[140:141], s[20:21]
	v_add_f64 v[18:19], v[18:19], -v[176:177]
	v_add_f64 v[4:5], v[4:5], -v[242:243]
	v_add_f64 v[6:7], v[6:7], v[8:9]
	v_mul_f64 v[8:9], v[158:159], s[6:7]
	v_add_f64 v[10:11], v[204:205], v[10:11]
	v_add_f64 v[12:13], v[12:13], v[14:15]
	v_mul_f64 v[14:15], v[148:149], s[14:15]
	v_add_f64 v[16:17], v[16:17], -v[182:183]
	v_add_f64 v[18:19], v[28:29], v[18:19]
	v_mul_f64 v[0:1], v[200:201], s[6:7]
	v_add_f64 v[108:109], v[4:5], v[6:7]
	v_mul_f64 v[6:7], v[166:167], s[22:23]
	v_add_f64 v[8:9], v[208:209], v[8:9]
	v_add_f64 v[10:11], v[10:11], v[12:13]
	v_mul_f64 v[12:13], v[154:155], s[6:7]
	v_add_f64 v[14:15], v[14:15], -v[184:185]
	v_add_f64 v[16:17], v[16:17], v[18:19]
	v_add_f64 v[0:1], v[116:117], v[0:1]
	v_mul_f64 v[4:5], v[172:173], s[16:17]
	v_add_f64 v[6:7], v[212:213], v[6:7]
	v_add_f64 v[8:9], v[8:9], v[10:11]
	v_mul_f64 v[10:11], v[164:165], s[22:23]
	v_add_f64 v[12:13], v[12:13], -v[186:187]
	v_add_f64 v[14:15], v[14:15], v[16:17]
	v_add_f64 v[22:23], v[96:97], v[22:23]
	v_fma_f64 v[96:97], s[14:15], v[154:155], v[110:111]
	v_add_f64 v[110:111], v[0:1], v[2:3]
	v_mul_f64 v[2:3], v[180:181], s[0:1]
	v_add_f64 v[4:5], v[214:215], v[4:5]
	v_add_f64 v[6:7], v[6:7], v[8:9]
	v_mul_f64 v[8:9], v[170:171], s[16:17]
	v_add_f64 v[10:11], v[10:11], -v[190:191]
	v_add_f64 v[12:13], v[12:13], v[14:15]
	v_mul_f64 v[0:1], v[200:201], s[18:19]
	v_add_f64 v[2:3], v[216:217], v[2:3]
	v_add_f64 v[4:5], v[4:5], v[6:7]
	v_mul_f64 v[6:7], v[178:179], s[0:1]
	v_add_f64 v[8:9], v[8:9], -v[202:203]
	v_add_f64 v[10:11], v[10:11], v[12:13]
	v_add_f64 v[0:1], v[218:219], v[0:1]
	;; [unrolled: 1-line block ×3, first 2 shown]
	v_mul_f64 v[4:5], v[192:193], s[18:19]
	v_add_f64 v[6:7], v[6:7], -v[206:207]
	v_add_f64 v[8:9], v[8:9], v[10:11]
	v_add_f64 v[22:23], v[96:97], v[22:23]
	v_fma_f64 v[96:97], s[18:19], v[164:165], v[114:115]
	v_add_f64 v[4:5], v[4:5], -v[210:211]
	v_add_f64 v[6:7], v[6:7], v[8:9]
	v_add_f64 v[114:115], v[0:1], v[2:3]
	v_accvgpr_read_b32 v2, a144
	v_add_f64 v[112:113], v[4:5], v[6:7]
	v_mul_f64 v[0:1], v[200:201], s[14:15]
	v_accvgpr_read_b32 v3, a145
	v_accvgpr_read_b32 v4, a142
	v_add_f64 v[0:1], v[2:3], v[0:1]
	v_mul_f64 v[2:3], v[180:181], s[18:19]
	v_accvgpr_read_b32 v5, a143
	;; [unrolled: 4-line block ×8, first 2 shown]
	v_add_f64 v[14:15], v[16:17], v[14:15]
	v_add_f64 v[14:15], v[30:31], v[14:15]
	;; [unrolled: 1-line block ×7, first 2 shown]
	v_accvgpr_read_b32 v6, a136
	v_add_f64 v[2:3], v[2:3], v[4:5]
	v_mul_f64 v[4:5], v[192:193], s[14:15]
	v_accvgpr_read_b32 v7, a137
	v_accvgpr_read_b32 v8, a132
	v_add_f64 v[4:5], v[4:5], -v[6:7]
	v_mul_f64 v[6:7], v[178:179], s[18:19]
	v_accvgpr_read_b32 v9, a133
	v_accvgpr_read_b32 v10, a128
	v_add_f64 v[6:7], v[6:7], -v[8:9]
	;; [unrolled: 4-line block ×7, first 2 shown]
	v_mul_f64 v[18:19], v[128:129], s[16:17]
	v_accvgpr_read_b32 v21, a115
	v_add_f64 v[18:19], v[18:19], -v[20:21]
	v_add_f64 v[18:19], v[28:29], v[18:19]
	v_add_f64 v[16:17], v[16:17], v[18:19]
	;; [unrolled: 1-line block ×8, first 2 shown]
	v_accvgpr_read_b32 v2, a112
	v_add_f64 v[116:117], v[4:5], v[6:7]
	v_mul_f64 v[0:1], v[200:201], s[20:21]
	v_accvgpr_read_b32 v3, a113
	v_accvgpr_read_b32 v4, a110
	v_add_f64 v[0:1], v[2:3], v[0:1]
	v_mul_f64 v[2:3], v[180:181], s[16:17]
	v_accvgpr_read_b32 v5, a111
	;; [unrolled: 4-line block ×8, first 2 shown]
	v_add_f64 v[14:15], v[16:17], v[14:15]
	v_add_f64 v[14:15], v[30:31], v[14:15]
	;; [unrolled: 1-line block ×4, first 2 shown]
	v_fma_f64 v[96:97], s[6:7], v[170:171], v[130:131]
	v_add_f64 v[10:11], v[10:11], v[12:13]
	v_add_f64 v[22:23], v[96:97], v[22:23]
	v_fma_f64 v[96:97], s[10:11], v[178:179], v[174:175]
	v_add_f64 v[8:9], v[8:9], v[10:11]
	v_add_f64 v[22:23], v[96:97], v[22:23]
	v_add_f64 v[6:7], v[6:7], v[8:9]
	v_add_f64 v[96:97], v[26:27], v[22:23]
	v_add_f64 v[4:5], v[4:5], v[6:7]
	v_accvgpr_read_b32 v26, a100
	v_add_f64 v[2:3], v[2:3], v[4:5]
	v_mul_f64 v[4:5], v[192:193], s[20:21]
	v_accvgpr_read_b32 v27, a101
	v_accvgpr_read_b32 v121, a95
	v_add_f64 v[4:5], v[4:5], -v[26:27]
	v_mul_f64 v[26:27], v[178:179], s[16:17]
	v_accvgpr_read_b32 v120, a94
	v_accvgpr_read_b32 v123, a93
	v_add_f64 v[26:27], v[26:27], -v[120:121]
	v_mul_f64 v[120:121], v[170:171], s[0:1]
	v_accvgpr_read_b32 v122, a92
	v_accvgpr_read_b32 v125, a91
	;; [unrolled: 1-line block ×3, first 2 shown]
	v_mul_f64 v[24:25], v[140:141], s[18:19]
	v_add_f64 v[120:121], v[120:121], -v[122:123]
	v_mul_f64 v[122:123], v[164:165], s[14:15]
	v_accvgpr_read_b32 v124, a90
	v_accvgpr_read_b32 v127, a89
	;; [unrolled: 1-line block ×4, first 2 shown]
	v_mul_f64 v[16:17], v[128:129], s[0:1]
	v_mul_f64 v[12:13], v[128:129], s[14:15]
	;; [unrolled: 1-line block ×3, first 2 shown]
	v_add_f64 v[122:123], v[122:123], -v[124:125]
	v_mul_f64 v[124:125], v[154:155], s[10:11]
	v_accvgpr_read_b32 v126, a88
	v_accvgpr_read_b32 v129, a87
	v_add_f64 v[24:25], v[24:25], -v[130:131]
	v_mul_f64 v[130:131], v[150:151], s[6:7]
	v_mul_f64 v[134:135], v[150:151], s[18:19]
	;; [unrolled: 1-line block ×3, first 2 shown]
	v_accvgpr_read_b32 v162, a78
	v_add_f64 v[124:125], v[124:125], -v[126:127]
	v_mul_f64 v[126:127], v[148:149], s[22:23]
	v_accvgpr_read_b32 v128, a86
	v_add_f64 v[150:151], v[162:163], v[150:151]
	v_accvgpr_read_b32 v163, a77
	v_mul_f64 v[14:15], v[132:133], s[0:1]
	v_mul_f64 v[18:19], v[132:133], s[14:15]
	v_add_f64 v[126:127], v[126:127], -v[128:129]
	v_mul_f64 v[128:129], v[148:149], s[6:7]
	v_mul_f64 v[132:133], v[148:149], s[18:19]
	;; [unrolled: 1-line block ×3, first 2 shown]
	v_accvgpr_read_b32 v162, a76
	v_add_f64 v[148:149], v[162:163], v[148:149]
	v_accvgpr_read_b32 v163, a73
	v_mul_f64 v[144:145], v[166:167], s[20:21]
	v_accvgpr_read_b32 v162, a72
	v_add_f64 v[144:145], v[162:163], v[144:145]
	v_accvgpr_read_b32 v163, a69
	v_mul_f64 v[10:11], v[140:141], s[14:15]
	v_mul_f64 v[22:23], v[140:141], s[16:17]
	;; [unrolled: 1-line block ×3, first 2 shown]
	v_accvgpr_read_b32 v162, a68
	v_add_f64 v[140:141], v[162:163], v[140:141]
	v_accvgpr_read_b32 v163, a65
	v_accvgpr_read_b32 v162, a64
	v_add_f64 v[134:135], v[162:163], v[134:135]
	v_accvgpr_read_b32 v163, a61
	v_mul_f64 v[6:7], v[142:143], s[16:17]
	v_accvgpr_read_b32 v162, a60
	v_add_f64 v[6:7], v[162:163], v[6:7]
	v_accvgpr_read_b32 v163, a59
	v_accvgpr_read_b32 v162, a58
	v_add_f64 v[18:19], v[162:163], v[18:19]
	v_accvgpr_read_b32 v137, a83
	v_add_f64 v[18:19], v[30:31], v[18:19]
	;; [unrolled: 2-line block ×3, first 2 shown]
	v_add_f64 v[20:21], v[20:21], -v[136:137]
	v_add_f64 v[6:7], v[134:135], v[6:7]
	v_add_f64 v[20:21], v[28:29], v[20:21]
	;; [unrolled: 1-line block ×3, first 2 shown]
	v_accvgpr_read_b32 v141, a57
	v_add_f64 v[20:21], v[24:25], v[20:21]
	v_mul_f64 v[138:139], v[154:155], s[22:23]
	v_accvgpr_read_b32 v140, a56
	v_add_f64 v[20:21], v[126:127], v[20:21]
	v_add_f64 v[138:139], v[138:139], -v[140:141]
	v_accvgpr_read_b32 v141, a55
	v_add_f64 v[20:21], v[124:125], v[20:21]
	v_accvgpr_read_b32 v140, a54
	v_add_f64 v[20:21], v[122:123], v[20:21]
	v_add_f64 v[132:133], v[132:133], -v[140:141]
	v_accvgpr_read_b32 v141, a53
	v_add_f64 v[20:21], v[120:121], v[20:21]
	v_accvgpr_read_b32 v140, a52
	v_add_f64 v[20:21], v[26:27], v[20:21]
	v_accvgpr_read_b32 v135, a71
	v_add_f64 v[22:23], v[22:23], -v[140:141]
	v_accvgpr_read_b32 v141, a51
	v_add_f64 v[2:3], v[0:1], v[2:3]
	v_add_f64 v[0:1], v[4:5], v[20:21]
	v_mul_f64 v[4:5], v[178:179], s[6:7]
	v_accvgpr_read_b32 v134, a70
	v_accvgpr_read_b32 v140, a50
	v_add_f64 v[4:5], v[4:5], -v[134:135]
	v_accvgpr_read_b32 v135, a67
	v_add_f64 v[12:13], v[12:13], -v[140:141]
	v_mul_f64 v[122:123], v[170:171], s[10:11]
	v_accvgpr_read_b32 v134, a66
	v_add_f64 v[12:13], v[28:29], v[12:13]
	v_add_f64 v[122:123], v[122:123], -v[134:135]
	v_accvgpr_read_b32 v135, a63
	v_add_f64 v[12:13], v[22:23], v[12:13]
	v_mul_f64 v[8:9], v[142:143], s[14:15]
	v_mul_f64 v[142:143], v[164:165], s[20:21]
	v_accvgpr_read_b32 v134, a62
	v_add_f64 v[12:13], v[132:133], v[12:13]
	v_add_f64 v[134:135], v[142:143], -v[134:135]
	v_add_f64 v[12:13], v[138:139], v[12:13]
	v_accvgpr_read_b32 v18, a74
	v_add_f64 v[12:13], v[134:135], v[12:13]
	v_mul_f64 v[160:161], v[192:193], s[0:1]
	v_accvgpr_read_b32 v19, a75
	v_add_f64 v[12:13], v[122:123], v[12:13]
	v_add_f64 v[18:19], v[160:161], -v[18:19]
	v_add_f64 v[4:5], v[4:5], v[12:13]
	v_add_f64 v[4:5], v[18:19], v[4:5]
	v_accvgpr_read_b32 v18, a44
	v_mul_f64 v[20:21], v[180:181], s[20:21]
	v_accvgpr_read_b32 v19, a45
	v_add_f64 v[18:19], v[18:19], v[20:21]
	v_accvgpr_read_b32 v20, a40
	v_accvgpr_read_b32 v122, a158
	v_mul_f64 v[120:121], v[172:173], s[18:19]
	v_accvgpr_read_b32 v21, a41
	v_accvgpr_read_b32 v123, a159
	v_add_f64 v[20:21], v[20:21], v[120:121]
	v_accvgpr_read_b32 v121, a33
	v_add_f64 v[8:9], v[122:123], v[8:9]
	v_accvgpr_read_b32 v122, a154
	v_mul_f64 v[24:25], v[158:159], s[16:17]
	v_accvgpr_read_b32 v120, a32
	v_accvgpr_read_b32 v123, a155
	v_add_f64 v[24:25], v[120:121], v[24:25]
	v_accvgpr_read_b32 v120, a152
	v_add_f64 v[14:15], v[122:123], v[14:15]
	;; [unrolled: 2-line block ×3, first 2 shown]
	v_add_f64 v[120:121], v[120:121], v[130:131]
	v_add_f64 v[8:9], v[8:9], v[14:15]
	;; [unrolled: 1-line block ×4, first 2 shown]
	v_accvgpr_read_b32 v24, a148
	v_accvgpr_read_b32 v22, a36
	;; [unrolled: 1-line block ×3, first 2 shown]
	v_mul_f64 v[124:125], v[166:167], s[10:11]
	v_accvgpr_read_b32 v23, a37
	v_add_f64 v[10:11], v[10:11], -v[24:25]
	v_accvgpr_read_b32 v24, a146
	v_add_f64 v[22:23], v[22:23], v[124:125]
	v_accvgpr_read_b32 v25, a147
	v_add_f64 v[8:9], v[22:23], v[8:9]
	v_accvgpr_read_b32 v22, a156
	v_add_f64 v[16:17], v[16:17], -v[24:25]
	v_accvgpr_read_b32 v12, a48
	v_add_f64 v[8:9], v[20:21], v[8:9]
	v_accvgpr_read_b32 v20, a150
	v_accvgpr_read_b32 v23, a157
	v_add_f64 v[16:17], v[28:29], v[16:17]
	v_mul_f64 v[136:137], v[154:155], s[16:17]
	v_mul_f64 v[158:159], v[200:201], s[22:23]
	v_accvgpr_read_b32 v13, a49
	v_add_f64 v[8:9], v[18:19], v[8:9]
	v_accvgpr_read_b32 v18, a34
	v_accvgpr_read_b32 v21, a151
	v_add_f64 v[22:23], v[128:129], -v[22:23]
	v_add_f64 v[10:11], v[10:11], v[16:17]
	v_mul_f64 v[126:127], v[164:165], s[10:11]
	v_add_f64 v[12:13], v[12:13], v[158:159]
	v_accvgpr_read_b32 v14, a38
	v_accvgpr_read_b32 v19, a35
	v_add_f64 v[20:21], v[136:137], -v[20:21]
	v_add_f64 v[10:11], v[22:23], v[10:11]
	v_mul_f64 v[146:147], v[170:171], s[18:19]
	v_accvgpr_read_b32 v155, a81
	v_add_f64 v[122:123], v[12:13], v[8:9]
	v_accvgpr_read_b32 v12, a42
	v_accvgpr_read_b32 v15, a39
	v_add_f64 v[18:19], v[126:127], -v[18:19]
	v_add_f64 v[10:11], v[20:21], v[10:11]
	v_mul_f64 v[26:27], v[178:179], s[20:21]
	v_mul_f64 v[152:153], v[200:201], s[0:1]
	v_accvgpr_read_b32 v154, a80
	v_accvgpr_read_b32 v8, a46
	;; [unrolled: 1-line block ×3, first 2 shown]
	v_add_f64 v[14:15], v[146:147], -v[14:15]
	v_add_f64 v[10:11], v[18:19], v[10:11]
	v_add_f64 v[152:153], v[154:155], v[152:153]
	v_mul_f64 v[154:155], v[192:193], s[22:23]
	v_accvgpr_read_b32 v9, a47
	v_add_f64 v[12:13], v[26:27], -v[12:13]
	v_add_f64 v[10:11], v[14:15], v[10:11]
	v_add_f64 v[8:9], v[154:155], -v[8:9]
	v_add_f64 v[10:11], v[12:13], v[10:11]
	v_add_f64 v[120:121], v[8:9], v[10:11]
	;; [unrolled: 1-line block ×37, first 2 shown]
	v_accvgpr_read_b32 v153, a19
	v_add_f64 v[28:29], v[8:9], v[92:93]
	v_accvgpr_read_b32 v8, a18
	v_accvgpr_read_b32 v152, a0
	v_add_lshl_u32 v8, v153, v8, 4
	ds_write_b128 v8, v[28:31]
	ds_write_b128 v8, v[120:123] offset:16
	ds_write_b128 v8, v[4:7] offset:32
	;; [unrolled: 1-line block ×16, first 2 shown]
.LBB0_7:
	s_or_b64 exec, exec, s[36:37]
	s_movk_i32 s6, 0x90
	v_mov_b64_e32 v[0:1], s[4:5]
	v_mad_u64_u32 v[0:1], s[4:5], v152, s6, v[0:1]
	s_load_dwordx4 s[0:3], s[2:3], 0x0
	s_waitcnt lgkmcnt(0)
	s_barrier
	global_load_dwordx4 v[40:43], v[0:1], off
	global_load_dwordx4 v[36:39], v[0:1], off offset:16
	global_load_dwordx4 v[32:35], v[0:1], off offset:32
	global_load_dwordx4 v[28:31], v[0:1], off offset:48
	global_load_dwordx4 v[56:59], v[0:1], off offset:64
	global_load_dwordx4 v[52:55], v[0:1], off offset:80
	global_load_dwordx4 v[48:51], v[0:1], off offset:96
	global_load_dwordx4 v[44:47], v[0:1], off offset:112
	global_load_dwordx4 v[60:63], v[0:1], off offset:128
	v_add_lshl_u32 v4, v153, v152, 4
	ds_read_b128 v[96:99], v4
	ds_read_b128 v[0:3], v4 offset:272
	ds_read_b128 v[64:67], v4 offset:544
	;; [unrolled: 1-line block ×9, first 2 shown]
	s_mov_b32 s14, 0x134454ff
	s_mov_b32 s15, 0x3fee6f0e
	;; [unrolled: 1-line block ×12, first 2 shown]
	s_waitcnt vmcnt(8) lgkmcnt(8)
	v_mul_f64 v[8:9], v[0:1], v[42:43]
	s_waitcnt vmcnt(7) lgkmcnt(7)
	v_mul_f64 v[10:11], v[66:67], v[38:39]
	v_mul_f64 v[6:7], v[2:3], v[42:43]
	;; [unrolled: 1-line block ×3, first 2 shown]
	s_waitcnt vmcnt(5) lgkmcnt(5)
	v_mul_f64 v[18:19], v[74:75], v[30:31]
	s_waitcnt vmcnt(3) lgkmcnt(3)
	v_mul_f64 v[26:27], v[82:83], v[54:55]
	v_fmac_f64_e32 v[8:9], v[2:3], v[40:41]
	v_fma_f64 v[2:3], v[64:65], v[36:37], -v[10:11]
	v_mul_f64 v[14:15], v[70:71], v[34:35]
	s_waitcnt vmcnt(1) lgkmcnt(1)
	v_mul_f64 v[108:109], v[88:89], v[46:47]
	v_fmac_f64_e32 v[12:13], v[66:67], v[36:37]
	v_fma_f64 v[10:11], v[72:73], v[28:29], -v[18:19]
	v_fma_f64 v[18:19], v[80:81], v[52:53], -v[26:27]
	v_add_f64 v[66:67], v[96:97], v[2:3]
	v_mul_f64 v[16:17], v[68:69], v[34:35]
	v_mul_f64 v[20:21], v[72:73], v[30:31]
	;; [unrolled: 1-line block ×5, first 2 shown]
	v_fma_f64 v[0:1], v[0:1], v[40:41], -v[6:7]
	v_fma_f64 v[6:7], v[68:69], v[32:33], -v[14:15]
	v_fmac_f64_e32 v[108:109], v[90:91], v[44:45]
	v_add_f64 v[68:69], v[10:11], v[18:19]
	v_add_f64 v[66:67], v[66:67], v[10:11]
	v_mul_f64 v[22:23], v[78:79], v[58:59]
	v_mul_f64 v[102:103], v[86:87], v[50:51]
	v_fmac_f64_e32 v[16:17], v[70:71], v[32:33]
	v_fmac_f64_e32 v[20:21], v[74:75], v[28:29]
	;; [unrolled: 1-line block ×4, first 2 shown]
	v_fma_f64 v[26:27], v[88:89], v[44:45], -v[106:107]
	v_add_f64 v[70:71], v[12:13], -v[108:109]
	v_fma_f64 v[86:87], -0.5, v[68:69], v[96:97]
	v_add_f64 v[66:67], v[66:67], v[18:19]
	v_mul_f64 v[24:25], v[76:77], v[58:59]
	v_fma_f64 v[14:15], v[76:77], v[56:57], -v[22:23]
	v_fma_f64 v[22:23], v[84:85], v[48:49], -v[102:103]
	v_add_f64 v[72:73], v[20:21], -v[100:101]
	v_add_f64 v[74:75], v[2:3], -v[10:11]
	;; [unrolled: 1-line block ×3, first 2 shown]
	v_fma_f64 v[88:89], s[14:15], v[70:71], v[86:87]
	v_fmac_f64_e32 v[86:87], s[6:7], v[70:71]
	v_add_f64 v[84:85], v[66:67], v[26:27]
	v_add_f64 v[66:67], v[2:3], v[26:27]
	;; [unrolled: 1-line block ×3, first 2 shown]
	v_fmac_f64_e32 v[88:89], s[16:17], v[72:73]
	v_fmac_f64_e32 v[86:87], s[10:11], v[72:73]
	v_fmac_f64_e32 v[96:97], -0.5, v[66:67]
	v_fmac_f64_e32 v[88:89], s[4:5], v[68:69]
	v_fmac_f64_e32 v[86:87], s[4:5], v[68:69]
	v_fma_f64 v[90:91], s[6:7], v[72:73], v[96:97]
	v_add_f64 v[66:67], v[10:11], -v[2:3]
	v_add_f64 v[68:69], v[18:19], -v[26:27]
	v_fmac_f64_e32 v[96:97], s[14:15], v[72:73]
	v_fmac_f64_e32 v[90:91], s[16:17], v[70:71]
	v_add_f64 v[66:67], v[66:67], v[68:69]
	v_fmac_f64_e32 v[96:97], s[10:11], v[70:71]
	v_fmac_f64_e32 v[90:91], s[4:5], v[66:67]
	;; [unrolled: 1-line block ×3, first 2 shown]
	v_add_f64 v[66:67], v[98:99], v[12:13]
	v_add_f64 v[66:67], v[66:67], v[20:21]
	s_waitcnt vmcnt(0) lgkmcnt(0)
	v_mul_f64 v[112:113], v[92:93], v[62:63]
	v_add_f64 v[66:67], v[66:67], v[100:101]
	v_mul_f64 v[110:111], v[94:95], v[62:63]
	v_fmac_f64_e32 v[112:113], v[94:95], v[60:61]
	v_add_f64 v[94:95], v[66:67], v[108:109]
	v_add_f64 v[66:67], v[20:21], v[100:101]
	v_fma_f64 v[102:103], -0.5, v[66:67], v[98:99]
	v_add_f64 v[2:3], v[2:3], -v[26:27]
	v_fma_f64 v[26:27], s[6:7], v[2:3], v[102:103]
	v_add_f64 v[10:11], v[10:11], -v[18:19]
	v_add_f64 v[18:19], v[12:13], -v[20:21]
	;; [unrolled: 1-line block ×3, first 2 shown]
	v_fmac_f64_e32 v[102:103], s[14:15], v[2:3]
	v_fmac_f64_e32 v[26:27], s[10:11], v[10:11]
	v_add_f64 v[18:19], v[18:19], v[66:67]
	v_fmac_f64_e32 v[102:103], s[16:17], v[10:11]
	v_fmac_f64_e32 v[26:27], s[4:5], v[18:19]
	;; [unrolled: 1-line block ×3, first 2 shown]
	v_add_f64 v[18:19], v[12:13], v[108:109]
	v_fmac_f64_e32 v[98:99], -0.5, v[18:19]
	v_fma_f64 v[18:19], s[14:15], v[10:11], v[98:99]
	v_add_f64 v[12:13], v[20:21], -v[12:13]
	v_add_f64 v[20:21], v[100:101], -v[108:109]
	v_fmac_f64_e32 v[98:99], s[6:7], v[10:11]
	v_fmac_f64_e32 v[18:19], s[10:11], v[2:3]
	v_add_f64 v[12:13], v[12:13], v[20:21]
	v_fmac_f64_e32 v[98:99], s[16:17], v[2:3]
	v_add_f64 v[10:11], v[14:15], v[22:23]
	v_fmac_f64_e32 v[24:25], v[78:79], v[56:57]
	v_fma_f64 v[64:65], v[92:93], v[60:61], -v[110:111]
	v_fmac_f64_e32 v[18:19], s[4:5], v[12:13]
	v_fmac_f64_e32 v[98:99], s[4:5], v[12:13]
	v_fma_f64 v[10:11], -0.5, v[10:11], v[0:1]
	v_add_f64 v[12:13], v[16:17], -v[112:113]
	v_fma_f64 v[20:21], s[14:15], v[12:13], v[10:11]
	v_add_f64 v[66:67], v[24:25], -v[104:105]
	v_add_f64 v[68:69], v[6:7], -v[14:15]
	;; [unrolled: 1-line block ×3, first 2 shown]
	v_fmac_f64_e32 v[10:11], s[6:7], v[12:13]
	v_fmac_f64_e32 v[20:21], s[16:17], v[66:67]
	v_add_f64 v[68:69], v[68:69], v[70:71]
	v_fmac_f64_e32 v[10:11], s[10:11], v[66:67]
	v_fmac_f64_e32 v[20:21], s[4:5], v[68:69]
	;; [unrolled: 1-line block ×3, first 2 shown]
	v_add_f64 v[68:69], v[6:7], v[64:65]
	v_add_f64 v[2:3], v[0:1], v[6:7]
	v_fmac_f64_e32 v[0:1], -0.5, v[68:69]
	v_add_f64 v[2:3], v[2:3], v[14:15]
	v_fma_f64 v[74:75], s[6:7], v[66:67], v[0:1]
	v_fmac_f64_e32 v[0:1], s[14:15], v[66:67]
	v_add_f64 v[66:67], v[24:25], v[104:105]
	v_add_f64 v[2:3], v[2:3], v[22:23]
	v_add_f64 v[68:69], v[14:15], -v[6:7]
	v_add_f64 v[70:71], v[22:23], -v[64:65]
	v_fma_f64 v[82:83], -0.5, v[66:67], v[8:9]
	v_add_f64 v[6:7], v[6:7], -v[64:65]
	v_add_f64 v[2:3], v[2:3], v[64:65]
	v_add_f64 v[68:69], v[68:69], v[70:71]
	v_fma_f64 v[70:71], s[6:7], v[6:7], v[82:83]
	v_add_f64 v[14:15], v[14:15], -v[22:23]
	v_add_f64 v[22:23], v[16:17], -v[24:25]
	;; [unrolled: 1-line block ×3, first 2 shown]
	v_fmac_f64_e32 v[82:83], s[14:15], v[6:7]
	v_fmac_f64_e32 v[70:71], s[10:11], v[14:15]
	v_add_f64 v[22:23], v[22:23], v[64:65]
	v_fmac_f64_e32 v[82:83], s[16:17], v[14:15]
	v_fmac_f64_e32 v[70:71], s[4:5], v[22:23]
	;; [unrolled: 1-line block ×3, first 2 shown]
	v_add_f64 v[22:23], v[16:17], v[112:113]
	v_fmac_f64_e32 v[74:75], s[16:17], v[12:13]
	v_fmac_f64_e32 v[0:1], s[10:11], v[12:13]
	v_add_f64 v[12:13], v[8:9], v[16:17]
	v_fmac_f64_e32 v[8:9], -0.5, v[22:23]
	v_add_f64 v[12:13], v[12:13], v[24:25]
	v_fma_f64 v[22:23], s[14:15], v[14:15], v[8:9]
	v_add_f64 v[16:17], v[24:25], -v[16:17]
	v_add_f64 v[24:25], v[104:105], -v[112:113]
	v_fmac_f64_e32 v[8:9], s[6:7], v[14:15]
	v_fmac_f64_e32 v[0:1], s[4:5], v[68:69]
	;; [unrolled: 1-line block ×3, first 2 shown]
	v_add_f64 v[16:17], v[16:17], v[24:25]
	v_fmac_f64_e32 v[8:9], s[16:17], v[6:7]
	v_fmac_f64_e32 v[22:23], s[4:5], v[16:17]
	;; [unrolled: 1-line block ×3, first 2 shown]
	v_mul_f64 v[16:17], v[0:1], s[4:5]
	v_fmac_f64_e32 v[74:75], s[4:5], v[68:69]
	v_mul_f64 v[6:7], v[70:71], s[16:17]
	v_fma_f64 v[16:17], v[8:9], s[14:15], -v[16:17]
	v_mul_f64 v[8:9], v[8:9], s[4:5]
	v_add_f64 v[12:13], v[12:13], v[104:105]
	v_fmac_f64_e32 v[6:7], s[18:19], v[20:21]
	v_mul_f64 v[14:15], v[22:23], s[14:15]
	v_mul_f64 v[24:25], v[10:11], s[18:19]
	;; [unrolled: 1-line block ×4, first 2 shown]
	v_fma_f64 v[0:1], v[0:1], s[6:7], -v[8:9]
	v_mul_f64 v[8:9], v[82:83], s[18:19]
	v_add_f64 v[12:13], v[12:13], v[112:113]
	v_fmac_f64_e32 v[14:15], s[4:5], v[74:75]
	v_fma_f64 v[24:25], v[82:83], s[16:17], -v[24:25]
	v_fmac_f64_e32 v[20:21], s[18:19], v[70:71]
	v_fmac_f64_e32 v[104:105], s[4:5], v[22:23]
	v_add_f64 v[78:79], v[98:99], v[0:1]
	v_fma_f64 v[8:9], v[10:11], s[10:11], -v[8:9]
	v_add_f64 v[98:99], v[98:99], -v[0:1]
	v_accvgpr_read_b32 v0, a1
	v_add_f64 v[64:65], v[84:85], v[2:3]
	v_add_f64 v[68:69], v[88:89], v[6:7]
	;; [unrolled: 1-line block ×9, first 2 shown]
	v_add_f64 v[84:85], v[84:85], -v[2:3]
	v_add_f64 v[88:89], v[88:89], -v[6:7]
	;; [unrolled: 1-line block ×9, first 2 shown]
	v_lshl_add_u32 v222, v152, 4, v0
	ds_write_b128 v222, v[64:67]
	ds_write_b128 v222, v[68:71] offset:272
	ds_write_b128 v222, v[72:75] offset:544
	;; [unrolled: 1-line block ×9, first 2 shown]
	s_waitcnt lgkmcnt(0)
	s_barrier
	s_and_saveexec_b64 s[4:5], vcc
	s_cbranch_execz .LBB0_9
; %bb.8:
	global_load_dwordx4 v[104:107], v157, s[8:9] offset:2720
	s_add_u32 s6, s8, 0xaa0
	s_addc_u32 s7, s9, 0
	global_load_dwordx4 v[108:111], v157, s[6:7] offset:160
	global_load_dwordx4 v[112:115], v157, s[6:7] offset:320
	;; [unrolled: 1-line block ×12, first 2 shown]
	ds_read_b128 v[152:155], v222
	ds_read_b128 v[158:161], v222 offset:160
	global_load_dwordx4 v[162:165], v157, s[6:7] offset:2080
	ds_read_b128 v[166:169], v222 offset:320
	ds_read_b128 v[170:173], v222 offset:480
	;; [unrolled: 1-line block ×6, first 2 shown]
	global_load_dwordx4 v[190:193], v157, s[6:7] offset:2240
	ds_read_b128 v[194:197], v222 offset:1280
	ds_read_b128 v[198:201], v222 offset:1440
	;; [unrolled: 1-line block ×4, first 2 shown]
	global_load_dwordx4 v[210:213], v157, s[6:7] offset:2400
	global_load_dwordx4 v[214:217], v157, s[6:7] offset:2560
	s_waitcnt vmcnt(14) lgkmcnt(9)
	v_mul_f64 v[8:9], v[168:169], v[114:115]
	s_waitcnt vmcnt(13) lgkmcnt(8)
	v_mul_f64 v[10:11], v[172:173], v[118:119]
	;; [unrolled: 2-line block ×7, first 2 shown]
	v_mul_f64 v[6:7], v[154:155], v[106:107]
	v_mul_f64 v[220:221], v[152:153], v[106:107]
	v_fma_f64 v[218:219], v[152:153], v[104:105], -v[6:7]
	v_mul_f64 v[6:7], v[160:161], v[110:111]
	v_mul_f64 v[106:107], v[158:159], v[110:111]
	v_fmac_f64_e32 v[220:221], v[154:155], v[104:105]
	v_mul_f64 v[110:111], v[166:167], v[114:115]
	v_mul_f64 v[114:115], v[170:171], v[118:119]
	;; [unrolled: 1-line block ×7, first 2 shown]
	s_waitcnt vmcnt(7) lgkmcnt(2)
	v_mul_f64 v[22:23], v[200:201], v[142:143]
	v_mul_f64 v[138:139], v[198:199], v[142:143]
	s_waitcnt vmcnt(6) lgkmcnt(1)
	v_mul_f64 v[24:25], v[204:205], v[2:3]
	v_mul_f64 v[142:143], v[202:203], v[2:3]
	v_fma_f64 v[104:105], v[158:159], v[108:109], -v[6:7]
	v_fmac_f64_e32 v[106:107], v[160:161], v[108:109]
	ds_write_b128 v222, v[218:221]
	v_fma_f64 v[108:109], v[166:167], v[112:113], -v[8:9]
	v_fmac_f64_e32 v[110:111], v[168:169], v[112:113]
	v_fma_f64 v[112:113], v[170:171], v[116:117], -v[10:11]
	v_fmac_f64_e32 v[114:115], v[172:173], v[116:117]
	;; [unrolled: 2-line block ×9, first 2 shown]
	ds_write_b128 v222, v[104:107] offset:160
	ds_write_b128 v222, v[108:111] offset:320
	;; [unrolled: 1-line block ×10, first 2 shown]
	ds_read_b128 v[104:107], v222 offset:1920
	s_waitcnt vmcnt(5) lgkmcnt(12)
	v_mul_f64 v[0:1], v[208:209], v[146:147]
	v_mul_f64 v[2:3], v[206:207], v[146:147]
	v_fma_f64 v[0:1], v[206:207], v[144:145], -v[0:1]
	v_fmac_f64_e32 v[2:3], v[208:209], v[144:145]
	ds_write_b128 v222, v[0:3] offset:1760
	ds_read_b128 v[0:3], v222 offset:2080
	s_waitcnt vmcnt(4) lgkmcnt(2)
	v_mul_f64 v[6:7], v[106:107], v[150:151]
	v_mul_f64 v[110:111], v[104:105], v[150:151]
	v_fma_f64 v[108:109], v[104:105], v[148:149], -v[6:7]
	v_fmac_f64_e32 v[110:111], v[106:107], v[148:149]
	ds_write_b128 v222, v[108:111] offset:1920
	ds_read_b128 v[108:111], v222 offset:2240
	s_waitcnt vmcnt(3) lgkmcnt(2)
	v_mul_f64 v[6:7], v[2:3], v[164:165]
	v_mul_f64 v[106:107], v[0:1], v[164:165]
	v_fma_f64 v[104:105], v[0:1], v[162:163], -v[6:7]
	v_fmac_f64_e32 v[106:107], v[2:3], v[162:163]
	ds_read_b128 v[0:3], v222 offset:2400
	ds_write_b128 v222, v[104:107] offset:2080
	s_waitcnt vmcnt(2) lgkmcnt(2)
	v_mul_f64 v[6:7], v[110:111], v[192:193]
	v_mul_f64 v[106:107], v[108:109], v[192:193]
	v_fma_f64 v[104:105], v[108:109], v[190:191], -v[6:7]
	v_fmac_f64_e32 v[106:107], v[110:111], v[190:191]
	ds_write_b128 v222, v[104:107] offset:2240
	ds_read_b128 v[104:107], v222 offset:2560
	s_waitcnt vmcnt(1) lgkmcnt(3)
	v_mul_f64 v[6:7], v[2:3], v[212:213]
	v_mul_f64 v[110:111], v[0:1], v[212:213]
	v_fma_f64 v[108:109], v[0:1], v[210:211], -v[6:7]
	v_fmac_f64_e32 v[110:111], v[2:3], v[210:211]
	s_waitcnt vmcnt(0) lgkmcnt(0)
	v_mul_f64 v[0:1], v[106:107], v[216:217]
	v_mul_f64 v[2:3], v[104:105], v[216:217]
	v_accvgpr_read_b32 v152, a0
	v_fma_f64 v[0:1], v[104:105], v[214:215], -v[0:1]
	v_fmac_f64_e32 v[2:3], v[106:107], v[214:215]
	ds_write_b128 v222, v[108:111] offset:2400
	ds_write_b128 v222, v[0:3] offset:2560
.LBB0_9:
	s_or_b64 exec, exec, s[4:5]
	s_waitcnt lgkmcnt(0)
	s_barrier
	s_and_saveexec_b64 s[4:5], vcc
	s_cbranch_execz .LBB0_11
; %bb.10:
	ds_read_b128 v[64:67], v222
	ds_read_b128 v[68:71], v222 offset:160
	ds_read_b128 v[72:75], v222 offset:320
	;; [unrolled: 1-line block ×16, first 2 shown]
.LBB0_11:
	s_or_b64 exec, exec, s[4:5]
	s_waitcnt lgkmcnt(0)
	s_barrier
	s_and_saveexec_b64 s[4:5], vcc
	s_cbranch_execz .LBB0_13
; %bb.12:
	v_accvgpr_write_b32 a32, v40
	v_accvgpr_write_b32 a33, v41
	v_accvgpr_write_b32 a34, v42
	v_accvgpr_write_b32 a35, v43
	v_accvgpr_read_b32 v43, a31
	v_accvgpr_read_b32 v42, a30
	;; [unrolled: 1-line block ×4, first 2 shown]
	v_accvgpr_write_b32 a28, v36
	v_accvgpr_write_b32 a29, v37
	;; [unrolled: 1-line block ×4, first 2 shown]
	v_accvgpr_read_b32 v39, a27
	v_accvgpr_read_b32 v38, a26
	;; [unrolled: 1-line block ×4, first 2 shown]
	v_accvgpr_write_b32 a24, v32
	v_accvgpr_read_b32 v247, a5
	v_accvgpr_write_b32 a25, v33
	v_accvgpr_write_b32 a26, v34
	;; [unrolled: 1-line block ×3, first 2 shown]
	v_accvgpr_read_b32 v35, a23
	v_accvgpr_read_b32 v251, a9
	;; [unrolled: 1-line block ×4, first 2 shown]
	s_mov_b32 s34, 0xacd6c6b4
	v_accvgpr_read_b32 v34, a22
	v_accvgpr_read_b32 v33, a21
	;; [unrolled: 1-line block ×3, first 2 shown]
	v_accvgpr_write_b32 a20, v28
	v_accvgpr_read_b32 v255, a13
	v_accvgpr_read_b32 v249, a7
	;; [unrolled: 1-line block ×3, first 2 shown]
	s_mov_b32 s38, 0x5d8e7cdc
	v_accvgpr_read_b32 v246, a4
	v_add_f64 v[204:205], v[68:69], -v[244:245]
	s_mov_b32 s35, 0xbfc7851a
	s_mov_b32 s28, 0x7faef3
	v_accvgpr_write_b32 a21, v29
	v_accvgpr_write_b32 a22, v30
	;; [unrolled: 1-line block ×3, first 2 shown]
	v_accvgpr_read_b32 v31, a17
	v_accvgpr_read_b32 v253, a11
	;; [unrolled: 1-line block ×3, first 2 shown]
	s_mov_b32 s30, 0x4363dd80
	v_accvgpr_read_b32 v250, a8
	v_add_f64 v[202:203], v[72:73], -v[248:249]
	s_mov_b32 s39, 0x3fd71e95
	s_mov_b32 s24, 0x370991
	v_mul_f64 v[108:109], v[204:205], s[34:35]
	v_add_f64 v[180:181], v[70:71], v[246:247]
	s_mov_b32 s29, 0xbfef7484
	v_accvgpr_read_b32 v29, a15
	v_accvgpr_read_b32 v28, a14
	s_mov_b32 s44, 0x2a9d6da3
	v_accvgpr_read_b32 v254, a12
	v_add_f64 v[194:195], v[76:77], -v[252:253]
	s_mov_b32 s31, 0xbfe0d888
	s_mov_b32 s22, 0x910ea3b9
	v_mul_f64 v[26:27], v[202:203], s[38:39]
	v_add_f64 v[176:177], v[74:75], v[250:251]
	s_mov_b32 s25, 0x3fedd6d0
	v_fma_f64 v[106:107], s[28:29], v[180:181], v[108:109]
	v_add_f64 v[220:221], v[70:71], -v[246:247]
	s_mov_b32 s26, 0x6c9a05f6
	v_accvgpr_read_b32 v30, a16
	v_add_f64 v[182:183], v[80:81], -v[28:29]
	s_mov_b32 s45, 0x3fe58eea
	s_mov_b32 s18, 0x75d4884
	v_mul_f64 v[22:23], v[194:195], s[30:31]
	v_add_f64 v[172:173], v[78:79], v[254:255]
	s_mov_b32 s23, 0xbfeb34fa
	v_fma_f64 v[104:105], s[24:25], v[176:177], v[26:27]
	v_add_f64 v[106:107], v[66:67], v[106:107]
	v_add_f64 v[218:219], v[74:75], -v[250:251]
	v_add_f64 v[200:201], v[68:69], v[244:245]
	v_mul_f64 v[124:125], v[220:221], s[34:35]
	s_mov_b32 s36, 0x7c9e640b
	v_add_f64 v[178:179], v[84:85], -v[32:33]
	s_mov_b32 s27, 0xbfe9895b
	s_mov_b32 s16, 0x6ed5f1bb
	v_mul_f64 v[18:19], v[182:183], s[44:45]
	v_add_f64 v[168:169], v[82:83], v[30:31]
	s_mov_b32 s19, 0x3fe7a5f6
	v_fma_f64 v[24:25], s[22:23], v[172:173], v[22:23]
	v_add_f64 v[104:105], v[104:105], v[106:107]
	v_add_f64 v[216:217], v[78:79], -v[254:255]
	v_add_f64 v[198:199], v[72:73], v[248:249]
	v_mul_f64 v[120:121], v[218:219], s[38:39]
	v_fma_f64 v[126:127], v[200:201], s[28:29], -v[124:125]
	s_mov_b32 s20, 0x923c349f
	v_add_f64 v[174:175], v[88:89], -v[36:37]
	s_mov_b32 s37, 0x3feca52d
	s_mov_b32 s14, 0x2b2883cd
	v_mul_f64 v[14:15], v[178:179], s[26:27]
	v_add_f64 v[164:165], v[86:87], v[34:35]
	s_mov_b32 s17, 0xbfe348c8
	v_fma_f64 v[20:21], s[18:19], v[168:169], v[18:19]
	v_add_f64 v[24:25], v[24:25], v[104:105]
	v_add_f64 v[214:215], v[82:83], -v[30:31]
	v_add_f64 v[196:197], v[76:77], v[252:253]
	v_mul_f64 v[116:117], v[216:217], s[30:31]
	v_fma_f64 v[122:123], v[198:199], s[24:25], -v[120:121]
	v_add_f64 v[126:127], v[64:65], v[126:127]
	s_mov_b32 s48, 0xeb564b22
	v_add_f64 v[170:171], v[92:93], -v[40:41]
	s_mov_b32 s21, 0xbfeec746
	s_mov_b32 s10, 0xc61f0d01
	v_mul_f64 v[10:11], v[174:175], s[36:37]
	v_add_f64 v[162:163], v[90:91], v[38:39]
	s_mov_b32 s15, 0x3fdc86fa
	v_fma_f64 v[16:17], s[16:17], v[164:165], v[14:15]
	v_add_f64 v[20:21], v[20:21], v[24:25]
	v_add_f64 v[212:213], v[86:87], -v[34:35]
	v_add_f64 v[192:193], v[80:81], v[28:29]
	v_mul_f64 v[114:115], v[214:215], s[44:45]
	v_fma_f64 v[118:119], v[196:197], s[22:23], -v[116:117]
	v_add_f64 v[122:123], v[122:123], v[126:127]
	v_add_f64 v[166:167], v[96:97], -v[100:101]
	s_mov_b32 s49, 0x3fefdd0d
	s_mov_b32 s6, 0x3259b75e
	v_mul_f64 v[6:7], v[170:171], s[20:21]
	v_add_f64 v[160:161], v[94:95], v[42:43]
	s_mov_b32 s11, 0xbfd183b1
	v_fma_f64 v[12:13], s[14:15], v[162:163], v[10:11]
	v_add_f64 v[16:17], v[16:17], v[20:21]
	v_add_f64 v[210:211], v[90:91], -v[38:39]
	v_add_f64 v[190:191], v[84:85], v[32:33]
	v_mul_f64 v[112:113], v[212:213], s[26:27]
	v_fma_f64 v[110:111], v[192:193], s[18:19], -v[114:115]
	v_add_f64 v[118:119], v[118:119], v[122:123]
	v_mul_f64 v[0:1], v[166:167], s[48:49]
	v_add_f64 v[158:159], v[98:99], v[102:103]
	s_mov_b32 s7, 0x3fb79ee6
	v_fma_f64 v[8:9], s[10:11], v[160:161], v[6:7]
	v_add_f64 v[12:13], v[12:13], v[16:17]
	v_add_f64 v[208:209], v[94:95], -v[42:43]
	v_add_f64 v[188:189], v[88:89], v[36:37]
	v_mul_f64 v[20:21], v[210:211], s[36:37]
	v_fma_f64 v[104:105], v[190:191], s[16:17], -v[112:113]
	v_add_f64 v[110:111], v[110:111], v[118:119]
	v_fma_f64 v[2:3], s[6:7], v[158:159], v[0:1]
	v_add_f64 v[8:9], v[8:9], v[12:13]
	v_add_f64 v[206:207], v[98:99], -v[102:103]
	v_add_f64 v[186:187], v[92:93], v[40:41]
	v_mul_f64 v[12:13], v[208:209], s[20:21]
	v_fma_f64 v[24:25], v[188:189], s[14:15], -v[20:21]
	v_add_f64 v[104:105], v[104:105], v[110:111]
	v_add_f64 v[106:107], v[2:3], v[8:9]
	v_add_f64 v[184:185], v[96:97], v[100:101]
	v_mul_f64 v[2:3], v[206:207], s[48:49]
	v_fma_f64 v[16:17], v[186:187], s[10:11], -v[12:13]
	v_add_f64 v[24:25], v[24:25], v[104:105]
	v_fma_f64 v[8:9], v[184:185], s[6:7], -v[2:3]
	v_add_f64 v[16:17], v[16:17], v[24:25]
	v_add_f64 v[104:105], v[8:9], v[16:17]
	v_fma_f64 v[16:17], v[172:173], s[22:23], -v[22:23]
	v_fma_f64 v[22:23], v[180:181], s[28:29], -v[108:109]
	v_fma_f64 v[8:9], v[162:163], s[14:15], -v[10:11]
	v_fma_f64 v[10:11], v[164:165], s[16:17], -v[14:15]
	v_fma_f64 v[14:15], v[168:169], s[18:19], -v[18:19]
	v_fma_f64 v[18:19], v[176:177], s[24:25], -v[26:27]
	v_add_f64 v[22:23], v[66:67], v[22:23]
	v_add_f64 v[18:19], v[18:19], v[22:23]
	;; [unrolled: 1-line block ×5, first 2 shown]
	v_fma_f64 v[6:7], v[160:161], s[10:11], -v[6:7]
	v_add_f64 v[8:9], v[8:9], v[10:11]
	v_fma_f64 v[0:1], v[158:159], s[6:7], -v[0:1]
	v_add_f64 v[6:7], v[6:7], v[8:9]
	v_fmac_f64_e32 v[124:125], s[28:29], v[200:201]
	v_add_f64 v[110:111], v[0:1], v[6:7]
	v_fmac_f64_e32 v[120:121], s[24:25], v[198:199]
	;; [unrolled: 2-line block ×4, first 2 shown]
	v_add_f64 v[0:1], v[116:117], v[0:1]
	v_mul_f64 v[116:117], v[204:205], s[30:31]
	v_fmac_f64_e32 v[112:113], s[16:17], v[190:191]
	v_add_f64 v[0:1], v[114:115], v[0:1]
	s_mov_b32 s43, 0xbfefdd0d
	s_mov_b32 s42, s48
	v_mul_f64 v[26:27], v[202:203], s[36:37]
	v_fma_f64 v[114:115], s[22:23], v[180:181], v[116:117]
	v_add_f64 v[0:1], v[112:113], v[0:1]
	s_mov_b32 s55, 0x3fe9895b
	s_mov_b32 s54, s26
	v_mul_f64 v[22:23], v[194:195], s[42:43]
	v_fma_f64 v[112:113], s[14:15], v[176:177], v[26:27]
	v_add_f64 v[114:115], v[66:67], v[114:115]
	v_mul_f64 v[132:133], v[220:221], s[30:31]
	v_fmac_f64_e32 v[20:21], s[14:15], v[188:189]
	s_mov_b32 s41, 0xbfd71e95
	s_mov_b32 s40, s38
	v_mul_f64 v[18:19], v[182:183], s[54:55]
	v_fma_f64 v[24:25], s[6:7], v[172:173], v[22:23]
	v_add_f64 v[112:113], v[112:113], v[114:115]
	v_mul_f64 v[128:129], v[218:219], s[36:37]
	v_fma_f64 v[134:135], v[200:201], s[22:23], -v[132:133]
	v_add_f64 v[0:1], v[20:21], v[0:1]
	v_mul_f64 v[14:15], v[178:179], s[40:41]
	v_fma_f64 v[20:21], s[16:17], v[168:169], v[18:19]
	v_add_f64 v[24:25], v[24:25], v[112:113]
	v_mul_f64 v[124:125], v[216:217], s[42:43]
	v_fma_f64 v[130:131], v[198:199], s[14:15], -v[128:129]
	v_add_f64 v[134:135], v[64:65], v[134:135]
	v_fmac_f64_e32 v[12:13], s[10:11], v[186:187]
	v_mul_f64 v[10:11], v[174:175], s[34:35]
	v_fma_f64 v[16:17], s[24:25], v[164:165], v[14:15]
	v_add_f64 v[20:21], v[20:21], v[24:25]
	v_mul_f64 v[122:123], v[214:215], s[54:55]
	v_fma_f64 v[126:127], v[196:197], s[6:7], -v[124:125]
	v_add_f64 v[130:131], v[130:131], v[134:135]
	v_fmac_f64_e32 v[2:3], s[6:7], v[184:185]
	v_add_f64 v[0:1], v[12:13], v[0:1]
	v_mul_f64 v[6:7], v[170:171], s[44:45]
	v_fma_f64 v[12:13], s[28:29], v[162:163], v[10:11]
	v_add_f64 v[16:17], v[16:17], v[20:21]
	v_mul_f64 v[120:121], v[212:213], s[40:41]
	v_fma_f64 v[118:119], v[192:193], s[16:17], -v[122:123]
	v_add_f64 v[126:127], v[126:127], v[130:131]
	v_add_f64 v[108:109], v[2:3], v[0:1]
	v_mul_f64 v[0:1], v[166:167], s[20:21]
	v_fma_f64 v[8:9], s[18:19], v[160:161], v[6:7]
	v_add_f64 v[12:13], v[12:13], v[16:17]
	v_mul_f64 v[20:21], v[210:211], s[34:35]
	v_fma_f64 v[112:113], v[190:191], s[24:25], -v[120:121]
	v_add_f64 v[118:119], v[118:119], v[126:127]
	v_fma_f64 v[2:3], s[10:11], v[158:159], v[0:1]
	v_add_f64 v[8:9], v[8:9], v[12:13]
	v_mul_f64 v[12:13], v[208:209], s[44:45]
	v_fma_f64 v[24:25], v[188:189], s[28:29], -v[20:21]
	v_add_f64 v[112:113], v[112:113], v[118:119]
	v_add_f64 v[114:115], v[2:3], v[8:9]
	v_mul_f64 v[2:3], v[206:207], s[20:21]
	v_fma_f64 v[16:17], v[186:187], s[18:19], -v[12:13]
	v_add_f64 v[24:25], v[24:25], v[112:113]
	v_fma_f64 v[8:9], v[184:185], s[10:11], -v[2:3]
	v_add_f64 v[16:17], v[16:17], v[24:25]
	v_add_f64 v[112:113], v[8:9], v[16:17]
	v_fma_f64 v[16:17], v[172:173], s[6:7], -v[22:23]
	v_fma_f64 v[22:23], v[180:181], s[22:23], -v[116:117]
	;; [unrolled: 1-line block ×6, first 2 shown]
	v_add_f64 v[22:23], v[66:67], v[22:23]
	v_add_f64 v[18:19], v[18:19], v[22:23]
	;; [unrolled: 1-line block ×5, first 2 shown]
	v_fma_f64 v[6:7], v[160:161], s[18:19], -v[6:7]
	v_add_f64 v[8:9], v[8:9], v[10:11]
	v_fma_f64 v[0:1], v[158:159], s[10:11], -v[0:1]
	v_add_f64 v[6:7], v[6:7], v[8:9]
	v_fmac_f64_e32 v[132:133], s[22:23], v[200:201]
	v_add_f64 v[118:119], v[0:1], v[6:7]
	v_fmac_f64_e32 v[128:129], s[14:15], v[198:199]
	;; [unrolled: 2-line block ×4, first 2 shown]
	v_add_f64 v[0:1], v[124:125], v[0:1]
	s_mov_b32 s53, 0x3feec746
	s_mov_b32 s52, s20
	v_mul_f64 v[124:125], v[204:205], s[26:27]
	v_fmac_f64_e32 v[120:121], s[24:25], v[190:191]
	v_add_f64 v[0:1], v[122:123], v[0:1]
	v_mul_f64 v[26:27], v[202:203], s[52:53]
	v_fma_f64 v[122:123], s[16:17], v[180:181], v[124:125]
	v_add_f64 v[0:1], v[120:121], v[0:1]
	v_mul_f64 v[22:23], v[194:195], s[40:41]
	v_fma_f64 v[120:121], s[10:11], v[176:177], v[26:27]
	v_add_f64 v[122:123], v[66:67], v[122:123]
	v_mul_f64 v[140:141], v[220:221], s[26:27]
	v_fmac_f64_e32 v[20:21], s[28:29], v[188:189]
	v_mul_f64 v[18:19], v[182:183], s[30:31]
	v_fma_f64 v[24:25], s[24:25], v[172:173], v[22:23]
	v_add_f64 v[120:121], v[120:121], v[122:123]
	v_mul_f64 v[136:137], v[218:219], s[52:53]
	v_fma_f64 v[142:143], v[200:201], s[16:17], -v[140:141]
	v_add_f64 v[0:1], v[20:21], v[0:1]
	s_mov_b32 s47, 0xbfe58eea
	s_mov_b32 s46, s44
	v_mul_f64 v[14:15], v[178:179], s[48:49]
	v_fma_f64 v[20:21], s[22:23], v[168:169], v[18:19]
	v_add_f64 v[24:25], v[24:25], v[120:121]
	v_mul_f64 v[132:133], v[216:217], s[40:41]
	v_fma_f64 v[138:139], v[198:199], s[10:11], -v[136:137]
	v_add_f64 v[142:143], v[64:65], v[142:143]
	v_fmac_f64_e32 v[12:13], s[18:19], v[186:187]
	v_mul_f64 v[10:11], v[174:175], s[46:47]
	v_fma_f64 v[16:17], s[6:7], v[164:165], v[14:15]
	v_add_f64 v[20:21], v[20:21], v[24:25]
	v_mul_f64 v[130:131], v[214:215], s[30:31]
	v_fma_f64 v[134:135], v[196:197], s[24:25], -v[132:133]
	v_add_f64 v[138:139], v[138:139], v[142:143]
	v_fmac_f64_e32 v[2:3], s[10:11], v[184:185]
	v_add_f64 v[0:1], v[12:13], v[0:1]
	v_mul_f64 v[6:7], v[170:171], s[34:35]
	v_fma_f64 v[12:13], s[18:19], v[162:163], v[10:11]
	v_add_f64 v[16:17], v[16:17], v[20:21]
	v_mul_f64 v[128:129], v[212:213], s[48:49]
	v_fma_f64 v[126:127], v[192:193], s[22:23], -v[130:131]
	v_add_f64 v[134:135], v[134:135], v[138:139]
	v_add_f64 v[116:117], v[2:3], v[0:1]
	v_mul_f64 v[0:1], v[166:167], s[36:37]
	v_fma_f64 v[8:9], s[28:29], v[160:161], v[6:7]
	v_add_f64 v[12:13], v[12:13], v[16:17]
	v_mul_f64 v[20:21], v[210:211], s[46:47]
	v_fma_f64 v[120:121], v[190:191], s[6:7], -v[128:129]
	v_add_f64 v[126:127], v[126:127], v[134:135]
	v_fma_f64 v[2:3], s[14:15], v[158:159], v[0:1]
	v_add_f64 v[8:9], v[8:9], v[12:13]
	v_mul_f64 v[12:13], v[208:209], s[34:35]
	v_fma_f64 v[24:25], v[188:189], s[18:19], -v[20:21]
	v_add_f64 v[120:121], v[120:121], v[126:127]
	v_add_f64 v[122:123], v[2:3], v[8:9]
	v_mul_f64 v[2:3], v[206:207], s[36:37]
	v_fma_f64 v[16:17], v[186:187], s[28:29], -v[12:13]
	v_add_f64 v[24:25], v[24:25], v[120:121]
	v_fma_f64 v[8:9], v[184:185], s[14:15], -v[2:3]
	v_add_f64 v[16:17], v[16:17], v[24:25]
	v_add_f64 v[120:121], v[8:9], v[16:17]
	v_fma_f64 v[16:17], v[172:173], s[24:25], -v[22:23]
	v_fma_f64 v[22:23], v[180:181], s[16:17], -v[124:125]
	;; [unrolled: 1-line block ×6, first 2 shown]
	v_add_f64 v[22:23], v[66:67], v[22:23]
	v_add_f64 v[18:19], v[18:19], v[22:23]
	;; [unrolled: 1-line block ×5, first 2 shown]
	v_fma_f64 v[6:7], v[160:161], s[28:29], -v[6:7]
	v_add_f64 v[8:9], v[8:9], v[10:11]
	v_fma_f64 v[0:1], v[158:159], s[14:15], -v[0:1]
	v_add_f64 v[6:7], v[6:7], v[8:9]
	v_fmac_f64_e32 v[140:141], s[16:17], v[200:201]
	v_add_f64 v[126:127], v[0:1], v[6:7]
	v_fmac_f64_e32 v[136:137], s[10:11], v[198:199]
	;; [unrolled: 2-line block ×4, first 2 shown]
	v_add_f64 v[0:1], v[132:133], v[0:1]
	s_mov_b32 s57, 0x3fe0d888
	s_mov_b32 s56, s30
	v_mul_f64 v[132:133], v[204:205], s[20:21]
	v_fmac_f64_e32 v[128:129], s[6:7], v[190:191]
	v_add_f64 v[0:1], v[130:131], v[0:1]
	v_mul_f64 v[26:27], v[202:203], s[56:57]
	v_fma_f64 v[130:131], s[10:11], v[180:181], v[132:133]
	v_add_f64 v[0:1], v[128:129], v[0:1]
	s_mov_b32 s51, 0xbfeca52d
	s_mov_b32 s50, s36
	v_mul_f64 v[22:23], v[194:195], s[44:45]
	v_fma_f64 v[128:129], s[22:23], v[176:177], v[26:27]
	v_add_f64 v[130:131], v[66:67], v[130:131]
	v_mul_f64 v[148:149], v[220:221], s[20:21]
	v_fmac_f64_e32 v[20:21], s[18:19], v[188:189]
	v_mul_f64 v[18:19], v[182:183], s[50:51]
	v_fma_f64 v[24:25], s[18:19], v[172:173], v[22:23]
	v_add_f64 v[128:129], v[128:129], v[130:131]
	v_mul_f64 v[144:145], v[218:219], s[56:57]
	v_fma_f64 v[150:151], v[200:201], s[10:11], -v[148:149]
	v_add_f64 v[0:1], v[20:21], v[0:1]
	v_mul_f64 v[14:15], v[178:179], s[34:35]
	v_fma_f64 v[20:21], s[14:15], v[168:169], v[18:19]
	v_add_f64 v[24:25], v[24:25], v[128:129]
	v_mul_f64 v[140:141], v[216:217], s[44:45]
	v_fma_f64 v[146:147], v[198:199], s[22:23], -v[144:145]
	v_add_f64 v[150:151], v[64:65], v[150:151]
	v_fmac_f64_e32 v[12:13], s[28:29], v[186:187]
	v_mul_f64 v[10:11], v[174:175], s[48:49]
	v_fma_f64 v[16:17], s[28:29], v[164:165], v[14:15]
	v_add_f64 v[20:21], v[20:21], v[24:25]
	v_mul_f64 v[138:139], v[214:215], s[50:51]
	v_fma_f64 v[142:143], v[196:197], s[18:19], -v[140:141]
	v_add_f64 v[146:147], v[146:147], v[150:151]
	v_fmac_f64_e32 v[2:3], s[14:15], v[184:185]
	v_add_f64 v[0:1], v[12:13], v[0:1]
	v_mul_f64 v[6:7], v[170:171], s[40:41]
	v_fma_f64 v[12:13], s[6:7], v[162:163], v[10:11]
	v_add_f64 v[16:17], v[16:17], v[20:21]
	v_mul_f64 v[136:137], v[212:213], s[34:35]
	v_fma_f64 v[134:135], v[192:193], s[14:15], -v[138:139]
	v_add_f64 v[142:143], v[142:143], v[146:147]
	v_add_f64 v[124:125], v[2:3], v[0:1]
	v_mul_f64 v[0:1], v[166:167], s[26:27]
	v_fma_f64 v[8:9], s[24:25], v[160:161], v[6:7]
	v_add_f64 v[12:13], v[12:13], v[16:17]
	v_mul_f64 v[20:21], v[210:211], s[48:49]
	v_fma_f64 v[128:129], v[190:191], s[28:29], -v[136:137]
	v_add_f64 v[134:135], v[134:135], v[142:143]
	v_fma_f64 v[2:3], s[16:17], v[158:159], v[0:1]
	v_add_f64 v[8:9], v[8:9], v[12:13]
	v_mul_f64 v[12:13], v[208:209], s[40:41]
	v_fma_f64 v[24:25], v[188:189], s[6:7], -v[20:21]
	v_add_f64 v[128:129], v[128:129], v[134:135]
	v_add_f64 v[130:131], v[2:3], v[8:9]
	v_mul_f64 v[2:3], v[206:207], s[26:27]
	v_fma_f64 v[16:17], v[186:187], s[24:25], -v[12:13]
	v_add_f64 v[24:25], v[24:25], v[128:129]
	v_fma_f64 v[8:9], v[184:185], s[16:17], -v[2:3]
	v_add_f64 v[16:17], v[16:17], v[24:25]
	v_add_f64 v[128:129], v[8:9], v[16:17]
	v_fma_f64 v[16:17], v[172:173], s[18:19], -v[22:23]
	v_fma_f64 v[22:23], v[180:181], s[10:11], -v[132:133]
	;; [unrolled: 1-line block ×6, first 2 shown]
	v_add_f64 v[22:23], v[66:67], v[22:23]
	v_add_f64 v[18:19], v[18:19], v[22:23]
	;; [unrolled: 1-line block ×5, first 2 shown]
	v_fma_f64 v[6:7], v[160:161], s[24:25], -v[6:7]
	v_add_f64 v[8:9], v[8:9], v[10:11]
	v_fma_f64 v[0:1], v[158:159], s[16:17], -v[0:1]
	v_add_f64 v[6:7], v[6:7], v[8:9]
	v_fmac_f64_e32 v[148:149], s[10:11], v[200:201]
	v_add_f64 v[134:135], v[0:1], v[6:7]
	v_fmac_f64_e32 v[144:145], s[22:23], v[198:199]
	;; [unrolled: 2-line block ×4, first 2 shown]
	v_add_f64 v[0:1], v[140:141], v[0:1]
	v_mul_f64 v[140:141], v[204:205], s[42:43]
	v_fmac_f64_e32 v[136:137], s[28:29], v[190:191]
	v_add_f64 v[0:1], v[138:139], v[0:1]
	v_mul_f64 v[26:27], v[202:203], s[34:35]
	v_fma_f64 v[138:139], s[6:7], v[180:181], v[140:141]
	v_add_f64 v[0:1], v[136:137], v[0:1]
	v_mul_f64 v[22:23], v[194:195], s[52:53]
	v_fma_f64 v[136:137], s[28:29], v[176:177], v[26:27]
	v_add_f64 v[138:139], v[66:67], v[138:139]
	v_mul_f64 v[224:225], v[220:221], s[42:43]
	v_fmac_f64_e32 v[20:21], s[6:7], v[188:189]
	v_mul_f64 v[18:19], v[182:183], s[38:39]
	v_fma_f64 v[24:25], s[10:11], v[172:173], v[22:23]
	v_add_f64 v[136:137], v[136:137], v[138:139]
	v_mul_f64 v[152:153], v[218:219], s[34:35]
	v_fma_f64 v[226:227], v[200:201], s[6:7], -v[224:225]
	v_add_f64 v[0:1], v[20:21], v[0:1]
	v_mul_f64 v[14:15], v[178:179], s[50:51]
	v_fma_f64 v[20:21], s[24:25], v[168:169], v[18:19]
	v_add_f64 v[24:25], v[24:25], v[136:137]
	v_mul_f64 v[148:149], v[216:217], s[52:53]
	v_fma_f64 v[154:155], v[198:199], s[28:29], -v[152:153]
	v_add_f64 v[226:227], v[64:65], v[226:227]
	v_fmac_f64_e32 v[12:13], s[24:25], v[186:187]
	v_mul_f64 v[10:11], v[174:175], s[30:31]
	v_fma_f64 v[16:17], s[14:15], v[164:165], v[14:15]
	v_add_f64 v[20:21], v[20:21], v[24:25]
	v_mul_f64 v[146:147], v[214:215], s[38:39]
	v_fma_f64 v[150:151], v[196:197], s[10:11], -v[148:149]
	v_add_f64 v[154:155], v[154:155], v[226:227]
	v_fmac_f64_e32 v[2:3], s[16:17], v[184:185]
	v_add_f64 v[0:1], v[12:13], v[0:1]
	v_mul_f64 v[6:7], v[170:171], s[54:55]
	v_fma_f64 v[12:13], s[22:23], v[162:163], v[10:11]
	v_add_f64 v[16:17], v[16:17], v[20:21]
	v_mul_f64 v[144:145], v[212:213], s[50:51]
	v_fma_f64 v[142:143], v[192:193], s[24:25], -v[146:147]
	v_add_f64 v[150:151], v[150:151], v[154:155]
	v_add_f64 v[132:133], v[2:3], v[0:1]
	v_mul_f64 v[0:1], v[166:167], s[44:45]
	v_fma_f64 v[8:9], s[16:17], v[160:161], v[6:7]
	v_add_f64 v[12:13], v[12:13], v[16:17]
	v_mul_f64 v[20:21], v[210:211], s[30:31]
	v_fma_f64 v[136:137], v[190:191], s[14:15], -v[144:145]
	v_add_f64 v[142:143], v[142:143], v[150:151]
	v_fma_f64 v[2:3], s[18:19], v[158:159], v[0:1]
	v_add_f64 v[8:9], v[8:9], v[12:13]
	v_mul_f64 v[12:13], v[208:209], s[54:55]
	v_fma_f64 v[24:25], v[188:189], s[22:23], -v[20:21]
	v_add_f64 v[136:137], v[136:137], v[142:143]
	v_add_f64 v[138:139], v[2:3], v[8:9]
	v_mul_f64 v[2:3], v[206:207], s[44:45]
	v_fma_f64 v[16:17], v[186:187], s[16:17], -v[12:13]
	v_add_f64 v[24:25], v[24:25], v[136:137]
	v_fma_f64 v[8:9], v[184:185], s[18:19], -v[2:3]
	v_add_f64 v[16:17], v[16:17], v[24:25]
	v_add_f64 v[136:137], v[8:9], v[16:17]
	v_fma_f64 v[16:17], v[172:173], s[10:11], -v[22:23]
	v_fma_f64 v[22:23], v[180:181], s[6:7], -v[140:141]
	;; [unrolled: 1-line block ×6, first 2 shown]
	v_add_f64 v[22:23], v[66:67], v[22:23]
	v_add_f64 v[18:19], v[18:19], v[22:23]
	;; [unrolled: 1-line block ×5, first 2 shown]
	v_fma_f64 v[6:7], v[160:161], s[16:17], -v[6:7]
	v_add_f64 v[8:9], v[8:9], v[10:11]
	v_fma_f64 v[0:1], v[158:159], s[18:19], -v[0:1]
	v_add_f64 v[6:7], v[6:7], v[8:9]
	v_fmac_f64_e32 v[224:225], s[6:7], v[200:201]
	v_add_f64 v[142:143], v[0:1], v[6:7]
	v_fmac_f64_e32 v[152:153], s[28:29], v[198:199]
	;; [unrolled: 2-line block ×4, first 2 shown]
	v_add_f64 v[0:1], v[148:149], v[0:1]
	v_mul_f64 v[148:149], v[204:205], s[50:51]
	v_fmac_f64_e32 v[144:145], s[14:15], v[190:191]
	v_add_f64 v[0:1], v[146:147], v[0:1]
	s_mov_b32 s49, 0x3fc7851a
	s_mov_b32 s48, s34
	v_mul_f64 v[26:27], v[202:203], s[26:27]
	v_fma_f64 v[146:147], s[14:15], v[180:181], v[148:149]
	v_add_f64 v[0:1], v[144:145], v[0:1]
	v_mul_f64 v[22:23], v[194:195], s[48:49]
	v_fma_f64 v[144:145], s[16:17], v[176:177], v[26:27]
	v_add_f64 v[146:147], v[66:67], v[146:147]
	v_mul_f64 v[232:233], v[220:221], s[50:51]
	v_fmac_f64_e32 v[20:21], s[22:23], v[188:189]
	v_mul_f64 v[18:19], v[182:183], s[52:53]
	v_fma_f64 v[24:25], s[28:29], v[172:173], v[22:23]
	v_add_f64 v[144:145], v[144:145], v[146:147]
	v_mul_f64 v[228:229], v[218:219], s[26:27]
	v_fma_f64 v[234:235], v[200:201], s[14:15], -v[232:233]
	v_add_f64 v[0:1], v[20:21], v[0:1]
	v_mul_f64 v[14:15], v[178:179], s[44:45]
	v_fma_f64 v[20:21], s[10:11], v[168:169], v[18:19]
	v_add_f64 v[24:25], v[24:25], v[144:145]
	v_mul_f64 v[224:225], v[216:217], s[48:49]
	v_fma_f64 v[230:231], v[198:199], s[16:17], -v[228:229]
	v_add_f64 v[234:235], v[64:65], v[234:235]
	v_fmac_f64_e32 v[12:13], s[16:17], v[186:187]
	v_mul_f64 v[10:11], v[174:175], s[40:41]
	v_fma_f64 v[16:17], s[18:19], v[164:165], v[14:15]
	v_add_f64 v[20:21], v[20:21], v[24:25]
	v_mul_f64 v[152:153], v[214:215], s[52:53]
	v_fma_f64 v[226:227], v[196:197], s[28:29], -v[224:225]
	v_add_f64 v[230:231], v[230:231], v[234:235]
	v_fmac_f64_e32 v[2:3], s[18:19], v[184:185]
	v_add_f64 v[0:1], v[12:13], v[0:1]
	v_mul_f64 v[6:7], v[170:171], s[42:43]
	v_fma_f64 v[12:13], s[24:25], v[162:163], v[10:11]
	v_add_f64 v[16:17], v[16:17], v[20:21]
	v_mul_f64 v[150:151], v[212:213], s[44:45]
	v_fma_f64 v[154:155], v[192:193], s[10:11], -v[152:153]
	v_add_f64 v[226:227], v[226:227], v[230:231]
	v_add_f64 v[140:141], v[2:3], v[0:1]
	v_mul_f64 v[0:1], v[166:167], s[30:31]
	v_fma_f64 v[8:9], s[6:7], v[160:161], v[6:7]
	v_add_f64 v[12:13], v[12:13], v[16:17]
	v_mul_f64 v[20:21], v[210:211], s[40:41]
	v_fma_f64 v[144:145], v[190:191], s[18:19], -v[150:151]
	v_add_f64 v[154:155], v[154:155], v[226:227]
	v_fma_f64 v[2:3], s[22:23], v[158:159], v[0:1]
	v_add_f64 v[8:9], v[8:9], v[12:13]
	v_mul_f64 v[12:13], v[208:209], s[42:43]
	v_fma_f64 v[24:25], v[188:189], s[24:25], -v[20:21]
	v_add_f64 v[144:145], v[144:145], v[154:155]
	v_add_f64 v[146:147], v[2:3], v[8:9]
	v_mul_f64 v[2:3], v[206:207], s[30:31]
	v_fma_f64 v[16:17], v[186:187], s[6:7], -v[12:13]
	v_add_f64 v[24:25], v[24:25], v[144:145]
	v_fma_f64 v[8:9], v[184:185], s[22:23], -v[2:3]
	v_add_f64 v[16:17], v[16:17], v[24:25]
	v_add_f64 v[144:145], v[8:9], v[16:17]
	v_fma_f64 v[16:17], v[172:173], s[28:29], -v[22:23]
	v_fma_f64 v[22:23], v[180:181], s[14:15], -v[148:149]
	;; [unrolled: 1-line block ×6, first 2 shown]
	v_add_f64 v[22:23], v[66:67], v[22:23]
	v_add_f64 v[18:19], v[18:19], v[22:23]
	;; [unrolled: 1-line block ×5, first 2 shown]
	v_fma_f64 v[6:7], v[160:161], s[6:7], -v[6:7]
	v_add_f64 v[8:9], v[8:9], v[10:11]
	v_fma_f64 v[0:1], v[158:159], s[22:23], -v[0:1]
	v_add_f64 v[6:7], v[6:7], v[8:9]
	v_fmac_f64_e32 v[232:233], s[14:15], v[200:201]
	v_add_f64 v[154:155], v[0:1], v[6:7]
	v_fmac_f64_e32 v[228:229], s[16:17], v[198:199]
	;; [unrolled: 2-line block ×5, first 2 shown]
	v_add_f64 v[0:1], v[152:153], v[0:1]
	v_mul_f64 v[224:225], v[204:205], s[46:47]
	v_add_f64 v[0:1], v[150:151], v[0:1]
	v_mul_f64 v[26:27], v[202:203], s[42:43]
	v_fma_f64 v[150:151], s[18:19], v[180:181], v[224:225]
	v_mul_f64 v[22:23], v[194:195], s[26:27]
	v_fma_f64 v[148:149], s[6:7], v[176:177], v[26:27]
	v_add_f64 v[150:151], v[66:67], v[150:151]
	v_mul_f64 v[240:241], v[220:221], s[46:47]
	v_fmac_f64_e32 v[20:21], s[24:25], v[188:189]
	v_mul_f64 v[18:19], v[182:183], s[34:35]
	v_fma_f64 v[24:25], s[16:17], v[172:173], v[22:23]
	v_add_f64 v[148:149], v[148:149], v[150:151]
	v_mul_f64 v[236:237], v[218:219], s[42:43]
	v_fma_f64 v[242:243], v[200:201], s[18:19], -v[240:241]
	v_add_f64 v[0:1], v[20:21], v[0:1]
	v_mul_f64 v[14:15], v[178:179], s[56:57]
	v_fma_f64 v[20:21], s[28:29], v[168:169], v[18:19]
	v_add_f64 v[24:25], v[24:25], v[148:149]
	v_mul_f64 v[232:233], v[216:217], s[26:27]
	v_fma_f64 v[238:239], v[198:199], s[6:7], -v[236:237]
	v_add_f64 v[242:243], v[64:65], v[242:243]
	v_fmac_f64_e32 v[12:13], s[6:7], v[186:187]
	v_mul_f64 v[10:11], v[174:175], s[52:53]
	v_fma_f64 v[16:17], s[22:23], v[164:165], v[14:15]
	v_add_f64 v[20:21], v[20:21], v[24:25]
	v_mul_f64 v[228:229], v[214:215], s[34:35]
	v_fma_f64 v[234:235], v[196:197], s[16:17], -v[232:233]
	v_add_f64 v[238:239], v[238:239], v[242:243]
	v_fmac_f64_e32 v[2:3], s[22:23], v[184:185]
	v_add_f64 v[0:1], v[12:13], v[0:1]
	v_mul_f64 v[6:7], v[170:171], s[36:37]
	v_fma_f64 v[12:13], s[10:11], v[162:163], v[10:11]
	v_add_f64 v[16:17], v[16:17], v[20:21]
	v_mul_f64 v[226:227], v[212:213], s[56:57]
	v_fma_f64 v[230:231], v[192:193], s[28:29], -v[228:229]
	v_add_f64 v[234:235], v[234:235], v[238:239]
	v_add_f64 v[152:153], v[2:3], v[0:1]
	v_mul_f64 v[0:1], v[166:167], s[38:39]
	v_fma_f64 v[8:9], s[14:15], v[160:161], v[6:7]
	v_add_f64 v[12:13], v[12:13], v[16:17]
	v_mul_f64 v[20:21], v[210:211], s[52:53]
	v_fma_f64 v[148:149], v[190:191], s[22:23], -v[226:227]
	v_add_f64 v[230:231], v[230:231], v[234:235]
	v_fma_f64 v[2:3], s[24:25], v[158:159], v[0:1]
	v_add_f64 v[8:9], v[8:9], v[12:13]
	v_mul_f64 v[12:13], v[208:209], s[36:37]
	v_fma_f64 v[24:25], v[188:189], s[10:11], -v[20:21]
	v_add_f64 v[148:149], v[148:149], v[230:231]
	v_add_f64 v[150:151], v[2:3], v[8:9]
	v_mul_f64 v[8:9], v[206:207], s[38:39]
	v_fma_f64 v[16:17], v[186:187], s[14:15], -v[12:13]
	v_add_f64 v[24:25], v[24:25], v[148:149]
	v_fma_f64 v[2:3], v[184:185], s[24:25], -v[8:9]
	v_add_f64 v[16:17], v[16:17], v[24:25]
	v_add_f64 v[148:149], v[2:3], v[16:17]
	v_fma_f64 v[16:17], v[172:173], s[16:17], -v[22:23]
	v_fma_f64 v[22:23], v[180:181], s[18:19], -v[224:225]
	;; [unrolled: 1-line block ×7, first 2 shown]
	v_add_f64 v[22:23], v[66:67], v[22:23]
	v_add_f64 v[18:19], v[18:19], v[22:23]
	;; [unrolled: 1-line block ×6, first 2 shown]
	v_fma_f64 v[0:1], v[158:159], s[24:25], -v[0:1]
	v_add_f64 v[2:3], v[2:3], v[6:7]
	v_fmac_f64_e32 v[240:241], s[18:19], v[200:201]
	v_add_f64 v[2:3], v[0:1], v[2:3]
	v_fmac_f64_e32 v[236:237], s[6:7], v[198:199]
	v_add_f64 v[0:1], v[64:65], v[240:241]
	v_mul_f64 v[18:19], v[178:179], s[20:21]
	v_mul_f64 v[178:179], v[204:205], s[40:41]
	v_fmac_f64_e32 v[232:233], s[16:17], v[196:197]
	v_add_f64 v[0:1], v[236:237], v[0:1]
	v_mul_f64 v[10:11], v[170:171], s[30:31]
	v_mul_f64 v[22:23], v[182:183], s[42:43]
	;; [unrolled: 1-line block ×3, first 2 shown]
	v_fma_f64 v[182:183], s[24:25], v[180:181], v[178:179]
	v_fmac_f64_e32 v[228:229], s[28:29], v[192:193]
	v_add_f64 v[0:1], v[232:233], v[0:1]
	v_mul_f64 v[14:15], v[174:175], s[26:27]
	v_mul_f64 v[26:27], v[194:195], s[50:51]
	v_fma_f64 v[174:175], s[18:19], v[176:177], v[170:171]
	v_add_f64 v[182:183], v[66:67], v[182:183]
	v_fmac_f64_e32 v[226:227], s[22:23], v[190:191]
	v_add_f64 v[0:1], v[228:229], v[0:1]
	v_mul_f64 v[6:7], v[166:167], s[34:35]
	v_fma_f64 v[166:167], s[14:15], v[172:173], v[26:27]
	v_add_f64 v[174:175], v[174:175], v[182:183]
	v_fmac_f64_e32 v[20:21], s[10:11], v[188:189]
	v_add_f64 v[0:1], v[226:227], v[0:1]
	v_fma_f64 v[24:25], s[6:7], v[168:169], v[22:23]
	v_add_f64 v[166:167], v[166:167], v[174:175]
	v_add_f64 v[0:1], v[20:21], v[0:1]
	v_fma_f64 v[20:21], s[10:11], v[164:165], v[18:19]
	v_add_f64 v[24:25], v[24:25], v[166:167]
	v_fmac_f64_e32 v[12:13], s[14:15], v[186:187]
	v_fma_f64 v[16:17], s[16:17], v[162:163], v[14:15]
	v_add_f64 v[20:21], v[20:21], v[24:25]
	v_fmac_f64_e32 v[8:9], s[24:25], v[184:185]
	v_add_f64 v[0:1], v[12:13], v[0:1]
	v_fma_f64 v[12:13], s[22:23], v[160:161], v[10:11]
	v_add_f64 v[16:17], v[16:17], v[20:21]
	v_add_f64 v[0:1], v[8:9], v[0:1]
	v_fma_f64 v[8:9], s[28:29], v[158:159], v[6:7]
	v_add_f64 v[12:13], v[12:13], v[16:17]
	v_mul_f64 v[194:195], v[214:215], s[42:43]
	v_mul_f64 v[214:215], v[220:221], s[40:41]
	v_add_f64 v[204:205], v[8:9], v[12:13]
	v_mul_f64 v[8:9], v[206:207], s[34:35]
	v_mul_f64 v[24:25], v[210:211], s[26:27]
	;; [unrolled: 1-line block ×4, first 2 shown]
	v_fma_f64 v[216:217], v[200:201], s[24:25], -v[214:215]
	v_mul_f64 v[174:175], v[212:213], s[20:21]
	v_fma_f64 v[212:213], v[198:199], s[18:19], -v[210:211]
	v_add_f64 v[216:217], v[64:65], v[216:217]
	v_mul_f64 v[16:17], v[208:209], s[30:31]
	v_fma_f64 v[208:209], v[196:197], s[14:15], -v[206:207]
	v_add_f64 v[212:213], v[212:213], v[216:217]
	v_fma_f64 v[202:203], v[192:193], s[6:7], -v[194:195]
	v_add_f64 v[208:209], v[208:209], v[212:213]
	;; [unrolled: 2-line block ×6, first 2 shown]
	v_add_f64 v[202:203], v[12:13], v[20:21]
	v_fma_f64 v[20:21], v[172:173], s[14:15], -v[26:27]
	v_fma_f64 v[26:27], v[180:181], s[24:25], -v[178:179]
	;; [unrolled: 1-line block ×6, first 2 shown]
	v_add_f64 v[26:27], v[66:67], v[26:27]
	v_add_f64 v[22:23], v[22:23], v[26:27]
	v_add_f64 v[20:21], v[20:21], v[22:23]
	v_add_f64 v[18:19], v[18:19], v[20:21]
	v_add_f64 v[14:15], v[14:15], v[18:19]
	v_fma_f64 v[10:11], v[160:161], s[22:23], -v[10:11]
	v_add_f64 v[12:13], v[12:13], v[14:15]
	v_fma_f64 v[6:7], v[158:159], s[28:29], -v[6:7]
	v_add_f64 v[10:11], v[10:11], v[12:13]
	v_fmac_f64_e32 v[214:215], s[24:25], v[200:201]
	v_add_f64 v[160:161], v[6:7], v[10:11]
	v_fmac_f64_e32 v[210:211], s[18:19], v[198:199]
	;; [unrolled: 2-line block ×8, first 2 shown]
	v_add_f64 v[6:7], v[16:17], v[6:7]
	v_add_f64 v[158:159], v[8:9], v[6:7]
	;; [unrolled: 1-line block ×34, first 2 shown]
	v_accvgpr_read_b32 v5, a1
	v_accvgpr_read_b32 v6, a18
	;; [unrolled: 1-line block ×6, first 2 shown]
	v_lshl_add_u32 v5, v6, 4, v5
	v_accvgpr_read_b32 v42, a34
	v_accvgpr_read_b32 v41, a33
	;; [unrolled: 1-line block ×12, first 2 shown]
	ds_write_b128 v5, v[8:11]
	ds_write_b128 v5, v[158:161] offset:16
	ds_write_b128 v5, v[0:3] offset:32
	;; [unrolled: 1-line block ×3, first 2 shown]
	v_accvgpr_read_b32 v152, a0
	ds_write_b128 v5, v[140:143] offset:64
	ds_write_b128 v5, v[132:135] offset:80
	;; [unrolled: 1-line block ×13, first 2 shown]
.LBB0_13:
	s_or_b64 exec, exec, s[4:5]
	s_waitcnt lgkmcnt(0)
	s_barrier
	ds_read_b128 v[0:3], v4
	ds_read_b128 v[6:9], v4 offset:272
	ds_read_b128 v[10:13], v4 offset:544
	;; [unrolled: 1-line block ×9, first 2 shown]
	s_waitcnt lgkmcnt(8)
	v_mul_f64 v[4:5], v[42:43], v[8:9]
	v_fmac_f64_e32 v[4:5], v[40:41], v[6:7]
	v_mul_f64 v[6:7], v[42:43], v[6:7]
	v_fma_f64 v[6:7], v[40:41], v[8:9], -v[6:7]
	s_waitcnt lgkmcnt(7)
	v_mul_f64 v[8:9], v[38:39], v[12:13]
	v_fmac_f64_e32 v[8:9], v[36:37], v[10:11]
	v_mul_f64 v[10:11], v[38:39], v[10:11]
	v_fma_f64 v[10:11], v[36:37], v[12:13], -v[10:11]
	;; [unrolled: 5-line block ×5, first 2 shown]
	s_waitcnt lgkmcnt(3)
	v_mul_f64 v[24:25], v[54:55], v[66:67]
	v_fmac_f64_e32 v[24:25], v[52:53], v[64:65]
	s_waitcnt lgkmcnt(1)
	v_mul_f64 v[34:35], v[46:47], v[72:73]
	v_mul_f64 v[26:27], v[54:55], v[64:65]
	;; [unrolled: 1-line block ×3, first 2 shown]
	v_fma_f64 v[34:35], v[44:45], v[74:75], -v[34:35]
	v_add_f64 v[42:43], v[16:17], v[24:25]
	s_mov_b32 s16, 0x134454ff
	v_fma_f64 v[26:27], v[52:53], v[66:67], -v[26:27]
	v_mul_f64 v[28:29], v[50:51], v[70:71]
	v_mul_f64 v[30:31], v[50:51], v[68:69]
	v_fmac_f64_e32 v[32:33], v[44:45], v[72:73]
	v_fma_f64 v[42:43], -0.5, v[42:43], v[0:1]
	v_add_f64 v[44:45], v[10:11], -v[34:35]
	s_mov_b32 s17, 0xbfee6f0e
	s_mov_b32 s14, 0x4755a5e
	;; [unrolled: 1-line block ×4, first 2 shown]
	v_fmac_f64_e32 v[28:29], v[48:49], v[68:69]
	v_fma_f64 v[30:31], v[48:49], v[70:71], -v[30:31]
	v_fma_f64 v[46:47], s[16:17], v[44:45], v[42:43]
	v_add_f64 v[48:49], v[18:19], -v[26:27]
	s_mov_b32 s15, 0xbfe2cf23
	v_add_f64 v[50:51], v[8:9], -v[16:17]
	v_add_f64 v[52:53], v[32:33], -v[24:25]
	s_mov_b32 s10, 0x372fe950
	v_fmac_f64_e32 v[42:43], s[6:7], v[44:45]
	s_mov_b32 s5, 0x3fe2cf23
	s_mov_b32 s4, s14
	v_fmac_f64_e32 v[46:47], s[14:15], v[48:49]
	v_add_f64 v[50:51], v[50:51], v[52:53]
	s_mov_b32 s11, 0x3fd3c6ef
	v_fmac_f64_e32 v[42:43], s[4:5], v[48:49]
	v_fmac_f64_e32 v[46:47], s[10:11], v[50:51]
	;; [unrolled: 1-line block ×3, first 2 shown]
	v_add_f64 v[50:51], v[8:9], v[32:33]
	v_add_f64 v[40:41], v[0:1], v[8:9]
	v_fmac_f64_e32 v[0:1], -0.5, v[50:51]
	v_add_f64 v[40:41], v[40:41], v[16:17]
	v_fma_f64 v[50:51], s[6:7], v[48:49], v[0:1]
	v_add_f64 v[52:53], v[16:17], -v[8:9]
	v_add_f64 v[54:55], v[24:25], -v[32:33]
	v_fmac_f64_e32 v[0:1], s[16:17], v[48:49]
	v_add_f64 v[48:49], v[18:19], v[26:27]
	v_add_f64 v[40:41], v[40:41], v[24:25]
	v_fmac_f64_e32 v[50:51], s[14:15], v[44:45]
	v_add_f64 v[52:53], v[52:53], v[54:55]
	v_fmac_f64_e32 v[0:1], s[4:5], v[44:45]
	v_fma_f64 v[48:49], -0.5, v[48:49], v[2:3]
	v_add_f64 v[8:9], v[8:9], -v[32:33]
	v_add_f64 v[40:41], v[40:41], v[32:33]
	v_fmac_f64_e32 v[50:51], s[10:11], v[52:53]
	v_fmac_f64_e32 v[0:1], s[10:11], v[52:53]
	v_fma_f64 v[52:53], s[6:7], v[8:9], v[48:49]
	v_add_f64 v[16:17], v[16:17], -v[24:25]
	v_add_f64 v[24:25], v[10:11], -v[18:19]
	;; [unrolled: 1-line block ×3, first 2 shown]
	v_fmac_f64_e32 v[48:49], s[16:17], v[8:9]
	v_fmac_f64_e32 v[52:53], s[4:5], v[16:17]
	v_add_f64 v[24:25], v[24:25], v[32:33]
	v_fmac_f64_e32 v[48:49], s[14:15], v[16:17]
	v_fmac_f64_e32 v[52:53], s[10:11], v[24:25]
	;; [unrolled: 1-line block ×3, first 2 shown]
	v_add_f64 v[24:25], v[10:11], v[34:35]
	v_add_f64 v[44:45], v[2:3], v[10:11]
	v_fmac_f64_e32 v[2:3], -0.5, v[24:25]
	v_fma_f64 v[54:55], s[16:17], v[16:17], v[2:3]
	v_fmac_f64_e32 v[2:3], s[6:7], v[16:17]
	v_fmac_f64_e32 v[54:55], s[4:5], v[8:9]
	;; [unrolled: 1-line block ×3, first 2 shown]
	v_add_f64 v[8:9], v[4:5], v[12:13]
	s_waitcnt lgkmcnt(0)
	v_mul_f64 v[36:37], v[62:63], v[78:79]
	v_add_f64 v[8:9], v[8:9], v[20:21]
	v_fmac_f64_e32 v[36:37], v[60:61], v[76:77]
	v_mul_f64 v[38:39], v[62:63], v[76:77]
	v_add_f64 v[8:9], v[8:9], v[28:29]
	v_fma_f64 v[38:39], v[60:61], v[78:79], -v[38:39]
	v_add_f64 v[44:45], v[44:45], v[18:19]
	v_add_f64 v[10:11], v[18:19], -v[10:11]
	v_add_f64 v[18:19], v[26:27], -v[34:35]
	v_add_f64 v[32:33], v[8:9], v[36:37]
	v_add_f64 v[8:9], v[20:21], v[28:29]
	;; [unrolled: 1-line block ×4, first 2 shown]
	v_fma_f64 v[26:27], -0.5, v[8:9], v[4:5]
	v_add_f64 v[8:9], v[14:15], -v[38:39]
	v_fmac_f64_e32 v[54:55], s[10:11], v[10:11]
	v_fmac_f64_e32 v[2:3], s[10:11], v[10:11]
	v_fma_f64 v[18:19], s[16:17], v[8:9], v[26:27]
	v_add_f64 v[10:11], v[22:23], -v[30:31]
	v_add_f64 v[16:17], v[12:13], -v[20:21]
	;; [unrolled: 1-line block ×3, first 2 shown]
	v_fmac_f64_e32 v[26:27], s[6:7], v[8:9]
	v_fmac_f64_e32 v[18:19], s[14:15], v[10:11]
	v_add_f64 v[16:17], v[16:17], v[24:25]
	v_fmac_f64_e32 v[26:27], s[4:5], v[10:11]
	v_fmac_f64_e32 v[18:19], s[10:11], v[16:17]
	v_fmac_f64_e32 v[26:27], s[10:11], v[16:17]
	v_add_f64 v[16:17], v[12:13], v[36:37]
	v_fmac_f64_e32 v[4:5], -0.5, v[16:17]
	v_add_f64 v[44:45], v[44:45], v[34:35]
	v_fma_f64 v[34:35], s[6:7], v[10:11], v[4:5]
	v_fmac_f64_e32 v[4:5], s[16:17], v[10:11]
	v_fmac_f64_e32 v[34:35], s[14:15], v[8:9]
	;; [unrolled: 1-line block ×3, first 2 shown]
	v_add_f64 v[8:9], v[6:7], v[14:15]
	v_add_f64 v[8:9], v[8:9], v[22:23]
	v_add_f64 v[8:9], v[8:9], v[30:31]
	v_add_f64 v[16:17], v[20:21], -v[12:13]
	v_add_f64 v[24:25], v[28:29], -v[36:37]
	v_add_f64 v[56:57], v[8:9], v[38:39]
	v_add_f64 v[8:9], v[22:23], v[30:31]
	;; [unrolled: 1-line block ×3, first 2 shown]
	v_fma_f64 v[58:59], -0.5, v[8:9], v[6:7]
	v_add_f64 v[8:9], v[12:13], -v[36:37]
	v_fmac_f64_e32 v[34:35], s[10:11], v[16:17]
	v_fmac_f64_e32 v[4:5], s[10:11], v[16:17]
	v_fma_f64 v[36:37], s[6:7], v[8:9], v[58:59]
	v_add_f64 v[10:11], v[20:21], -v[28:29]
	v_add_f64 v[12:13], v[14:15], -v[22:23]
	;; [unrolled: 1-line block ×3, first 2 shown]
	v_fmac_f64_e32 v[58:59], s[16:17], v[8:9]
	v_fmac_f64_e32 v[36:37], s[4:5], v[10:11]
	v_add_f64 v[12:13], v[12:13], v[16:17]
	v_fmac_f64_e32 v[58:59], s[14:15], v[10:11]
	v_fmac_f64_e32 v[36:37], s[10:11], v[12:13]
	;; [unrolled: 1-line block ×3, first 2 shown]
	v_add_f64 v[12:13], v[14:15], v[38:39]
	v_fmac_f64_e32 v[6:7], -0.5, v[12:13]
	v_fma_f64 v[28:29], s[16:17], v[10:11], v[6:7]
	v_add_f64 v[12:13], v[22:23], -v[14:15]
	v_add_f64 v[14:15], v[30:31], -v[38:39]
	v_fmac_f64_e32 v[6:7], s[6:7], v[10:11]
	v_fmac_f64_e32 v[28:29], s[4:5], v[8:9]
	v_add_f64 v[12:13], v[12:13], v[14:15]
	v_fmac_f64_e32 v[6:7], s[14:15], v[8:9]
	v_fmac_f64_e32 v[28:29], s[10:11], v[12:13]
	v_fmac_f64_e32 v[6:7], s[10:11], v[12:13]
	s_mov_b32 s18, 0x9b97f4a8
	v_mul_f64 v[30:31], v[36:37], s[14:15]
	s_mov_b32 s19, 0x3fe9e377
	v_mul_f64 v[38:39], v[28:29], s[16:17]
	v_mul_f64 v[60:61], v[6:7], s[16:17]
	s_mov_b32 s17, 0xbfd3c6ef
	s_mov_b32 s16, s10
	v_mul_f64 v[62:63], v[58:59], s[14:15]
	s_mov_b32 s15, 0xbfe9e377
	s_mov_b32 s14, s18
	v_mul_f64 v[64:65], v[36:37], s[18:19]
	v_mul_f64 v[66:67], v[28:29], s[10:11]
	;; [unrolled: 1-line block ×4, first 2 shown]
	v_add_f64 v[8:9], v[40:41], v[32:33]
	v_fmac_f64_e32 v[30:31], s[18:19], v[18:19]
	v_fmac_f64_e32 v[38:39], s[10:11], v[34:35]
	;; [unrolled: 1-line block ×4, first 2 shown]
	v_add_f64 v[10:11], v[44:45], v[56:57]
	v_fmac_f64_e32 v[64:65], s[4:5], v[18:19]
	v_fmac_f64_e32 v[66:67], s[6:7], v[34:35]
	;; [unrolled: 1-line block ×4, first 2 shown]
	v_add_f64 v[12:13], v[46:47], v[30:31]
	v_add_f64 v[16:17], v[50:51], v[38:39]
	;; [unrolled: 1-line block ×8, first 2 shown]
	v_add_f64 v[4:5], v[40:41], -v[32:33]
	v_add_f64 v[28:29], v[46:47], -v[30:31]
	;; [unrolled: 1-line block ×10, first 2 shown]
	ds_write_b128 v222, v[8:11]
	ds_write_b128 v222, v[12:15] offset:272
	ds_write_b128 v222, v[16:19] offset:544
	;; [unrolled: 1-line block ×9, first 2 shown]
	s_waitcnt lgkmcnt(0)
	s_barrier
	s_and_b64 exec, exec, vcc
	s_cbranch_execz .LBB0_15
; %bb.14:
	global_load_dwordx4 v[2:5], v157, s[8:9]
	v_mad_u64_u32 v[14:15], s[4:5], s2, v156, 0
	v_mad_u64_u32 v[16:17], s[6:7], s0, v152, 0
	ds_read_b128 v[6:9], v222
	ds_read_b128 v[10:13], v222 offset:160
	v_mov_b32_e32 v18, v15
	v_mov_b32_e32 v20, v17
	v_mad_u64_u32 v[18:19], s[2:3], s3, v156, v[18:19]
	v_mov_b32_e32 v0, s12
	v_mov_b32_e32 v1, s13
	v_mad_u64_u32 v[20:21], s[2:3], s1, v152, v[20:21]
	v_mov_b32_e32 v15, v18
	v_mov_b32_e32 v17, v20
	v_lshl_add_u64 v[0:1], v[14:15], 4, v[0:1]
	s_mov_b32 s4, 0x18181818
	v_lshl_add_u64 v[14:15], v[16:17], 4, v[0:1]
	s_mov_b32 s5, 0x3f781818
	s_mul_i32 s2, s1, 0xa0
	s_mul_i32 s3, s1, 0x140
	s_waitcnt vmcnt(0) lgkmcnt(1)
	v_mul_f64 v[16:17], v[8:9], v[4:5]
	v_mul_f64 v[4:5], v[6:7], v[4:5]
	v_fmac_f64_e32 v[16:17], v[6:7], v[2:3]
	v_fma_f64 v[4:5], v[2:3], v[8:9], -v[4:5]
	v_mul_f64 v[2:3], v[16:17], s[4:5]
	v_mul_f64 v[4:5], v[4:5], s[4:5]
	global_store_dwordx4 v[14:15], v[2:5], off
	global_load_dwordx4 v[4:7], v157, s[8:9] offset:160
	s_waitcnt vmcnt(0) lgkmcnt(0)
	v_mul_f64 v[8:9], v[12:13], v[6:7]
	v_mov_b32_e32 v2, 0xa0
	v_mul_f64 v[6:7], v[10:11], v[6:7]
	v_mad_u64_u32 v[16:17], s[6:7], s0, v2, v[14:15]
	v_fmac_f64_e32 v[8:9], v[10:11], v[4:5]
	v_fma_f64 v[6:7], v[4:5], v[12:13], -v[6:7]
	v_add_u32_e32 v17, s2, v17
	v_mul_f64 v[4:5], v[8:9], s[4:5]
	v_mul_f64 v[6:7], v[6:7], s[4:5]
	global_store_dwordx4 v[16:17], v[4:7], off
	global_load_dwordx4 v[4:7], v157, s[8:9] offset:320
	ds_read_b128 v[8:11], v222 offset:320
	ds_read_b128 v[12:15], v222 offset:480
	v_mad_u64_u32 v[16:17], s[6:7], s0, v2, v[16:17]
	v_add_u32_e32 v17, s2, v17
	v_or_b32_e32 v3, 0x50, v152
	s_waitcnt vmcnt(0) lgkmcnt(1)
	v_mul_f64 v[18:19], v[10:11], v[6:7]
	v_mul_f64 v[6:7], v[8:9], v[6:7]
	v_fmac_f64_e32 v[18:19], v[8:9], v[4:5]
	v_fma_f64 v[6:7], v[4:5], v[10:11], -v[6:7]
	v_mul_f64 v[4:5], v[18:19], s[4:5]
	v_mul_f64 v[6:7], v[6:7], s[4:5]
	global_store_dwordx4 v[16:17], v[4:7], off
	global_load_dwordx4 v[4:7], v157, s[8:9] offset:480
	v_mad_u64_u32 v[16:17], s[6:7], s0, v2, v[16:17]
	v_add_u32_e32 v17, s2, v17
	s_waitcnt vmcnt(0) lgkmcnt(0)
	v_mul_f64 v[8:9], v[14:15], v[6:7]
	v_mul_f64 v[6:7], v[12:13], v[6:7]
	v_fmac_f64_e32 v[8:9], v[12:13], v[4:5]
	v_fma_f64 v[6:7], v[4:5], v[14:15], -v[6:7]
	v_mul_f64 v[4:5], v[8:9], s[4:5]
	v_mul_f64 v[6:7], v[6:7], s[4:5]
	global_store_dwordx4 v[16:17], v[4:7], off
	global_load_dwordx4 v[4:7], v157, s[8:9] offset:640
	ds_read_b128 v[8:11], v222 offset:640
	ds_read_b128 v[12:15], v222 offset:800
	v_mad_u64_u32 v[16:17], s[6:7], s0, v2, v[16:17]
	v_add_u32_e32 v17, s2, v17
	s_waitcnt vmcnt(0) lgkmcnt(1)
	v_mul_f64 v[18:19], v[10:11], v[6:7]
	v_mul_f64 v[6:7], v[8:9], v[6:7]
	v_fmac_f64_e32 v[18:19], v[8:9], v[4:5]
	v_fma_f64 v[6:7], v[4:5], v[10:11], -v[6:7]
	v_mul_f64 v[4:5], v[18:19], s[4:5]
	v_mul_f64 v[6:7], v[6:7], s[4:5]
	global_store_dwordx4 v[16:17], v[4:7], off
	global_load_dwordx4 v[4:7], v157, s[8:9] offset:800
	v_mad_u64_u32 v[16:17], s[6:7], s0, v2, v[16:17]
	v_add_u32_e32 v17, s2, v17
	s_waitcnt vmcnt(0) lgkmcnt(0)
	v_mul_f64 v[8:9], v[14:15], v[6:7]
	v_mul_f64 v[6:7], v[12:13], v[6:7]
	v_fmac_f64_e32 v[8:9], v[12:13], v[4:5]
	v_fma_f64 v[6:7], v[4:5], v[14:15], -v[6:7]
	v_mul_f64 v[4:5], v[8:9], s[4:5]
	v_mul_f64 v[6:7], v[6:7], s[4:5]
	global_store_dwordx4 v[16:17], v[4:7], off
	global_load_dwordx4 v[4:7], v157, s[8:9] offset:960
	ds_read_b128 v[8:11], v222 offset:960
	ds_read_b128 v[12:15], v222 offset:1120
	v_mad_u64_u32 v[16:17], s[6:7], s0, v2, v[16:17]
	v_add_u32_e32 v17, s2, v17
	s_waitcnt vmcnt(0) lgkmcnt(1)
	v_mul_f64 v[18:19], v[10:11], v[6:7]
	v_mul_f64 v[6:7], v[8:9], v[6:7]
	v_fmac_f64_e32 v[18:19], v[8:9], v[4:5]
	v_fma_f64 v[6:7], v[4:5], v[10:11], -v[6:7]
	v_mul_f64 v[4:5], v[18:19], s[4:5]
	v_mul_f64 v[6:7], v[6:7], s[4:5]
	global_store_dwordx4 v[16:17], v[4:7], off
	global_load_dwordx4 v[4:7], v157, s[8:9] offset:1120
	v_mad_u64_u32 v[16:17], s[6:7], s0, v2, v[16:17]
	v_add_u32_e32 v17, s2, v17
	v_mad_u64_u32 v[18:19], s[6:7], s0, v3, 0
	v_mov_b32_e32 v20, v19
	v_mad_u64_u32 v[20:21], s[6:7], s1, v3, v[20:21]
	v_mov_b32_e32 v19, v20
	v_lshl_add_u64 v[18:19], v[18:19], 4, v[0:1]
	v_mov_b32_e32 v3, 0x140
	s_waitcnt vmcnt(0) lgkmcnt(0)
	v_mul_f64 v[8:9], v[14:15], v[6:7]
	v_mul_f64 v[6:7], v[12:13], v[6:7]
	v_fmac_f64_e32 v[8:9], v[12:13], v[4:5]
	v_fma_f64 v[6:7], v[4:5], v[14:15], -v[6:7]
	v_mul_f64 v[4:5], v[8:9], s[4:5]
	v_mul_f64 v[6:7], v[6:7], s[4:5]
	global_store_dwordx4 v[16:17], v[4:7], off
	global_load_dwordx4 v[4:7], v157, s[8:9] offset:1280
	ds_read_b128 v[8:11], v222 offset:1280
	ds_read_b128 v[12:15], v222 offset:1440
	v_mad_u64_u32 v[16:17], s[6:7], s0, v3, v[16:17]
	v_add_u32_e32 v17, s3, v17
	s_waitcnt vmcnt(0) lgkmcnt(1)
	v_mul_f64 v[20:21], v[10:11], v[6:7]
	v_mul_f64 v[6:7], v[8:9], v[6:7]
	v_fmac_f64_e32 v[20:21], v[8:9], v[4:5]
	v_fma_f64 v[6:7], v[4:5], v[10:11], -v[6:7]
	v_mul_f64 v[4:5], v[20:21], s[4:5]
	v_mul_f64 v[6:7], v[6:7], s[4:5]
	global_store_dwordx4 v[18:19], v[4:7], off
	global_load_dwordx4 v[4:7], v157, s[8:9] offset:1440
	s_waitcnt vmcnt(0) lgkmcnt(0)
	v_mul_f64 v[8:9], v[14:15], v[6:7]
	v_mul_f64 v[6:7], v[12:13], v[6:7]
	v_fmac_f64_e32 v[8:9], v[12:13], v[4:5]
	v_fma_f64 v[6:7], v[4:5], v[14:15], -v[6:7]
	v_mul_f64 v[4:5], v[8:9], s[4:5]
	v_mul_f64 v[6:7], v[6:7], s[4:5]
	global_store_dwordx4 v[16:17], v[4:7], off
	global_load_dwordx4 v[4:7], v157, s[8:9] offset:1600
	ds_read_b128 v[8:11], v222 offset:1600
	ds_read_b128 v[12:15], v222 offset:1760
	v_mad_u64_u32 v[16:17], s[6:7], s0, v2, v[16:17]
	v_add_u32_e32 v17, s2, v17
	s_waitcnt vmcnt(0) lgkmcnt(1)
	v_mul_f64 v[18:19], v[10:11], v[6:7]
	v_mul_f64 v[6:7], v[8:9], v[6:7]
	v_fmac_f64_e32 v[18:19], v[8:9], v[4:5]
	v_fma_f64 v[6:7], v[4:5], v[10:11], -v[6:7]
	v_mul_f64 v[4:5], v[18:19], s[4:5]
	v_mul_f64 v[6:7], v[6:7], s[4:5]
	global_store_dwordx4 v[16:17], v[4:7], off
	global_load_dwordx4 v[4:7], v157, s[8:9] offset:1760
	v_mad_u64_u32 v[16:17], s[6:7], s0, v2, v[16:17]
	v_add_u32_e32 v17, s2, v17
	s_waitcnt vmcnt(0) lgkmcnt(0)
	v_mul_f64 v[8:9], v[14:15], v[6:7]
	v_mul_f64 v[6:7], v[12:13], v[6:7]
	v_fmac_f64_e32 v[8:9], v[12:13], v[4:5]
	v_fma_f64 v[6:7], v[4:5], v[14:15], -v[6:7]
	v_mul_f64 v[4:5], v[8:9], s[4:5]
	v_mul_f64 v[6:7], v[6:7], s[4:5]
	global_store_dwordx4 v[16:17], v[4:7], off
	global_load_dwordx4 v[4:7], v157, s[8:9] offset:1920
	ds_read_b128 v[8:11], v222 offset:1920
	ds_read_b128 v[12:15], v222 offset:2080
	v_mad_u64_u32 v[16:17], s[6:7], s0, v2, v[16:17]
	v_add_u32_e32 v17, s2, v17
	s_waitcnt vmcnt(0) lgkmcnt(1)
	v_mul_f64 v[18:19], v[10:11], v[6:7]
	v_mul_f64 v[6:7], v[8:9], v[6:7]
	v_fmac_f64_e32 v[18:19], v[8:9], v[4:5]
	v_fma_f64 v[6:7], v[4:5], v[10:11], -v[6:7]
	v_mul_f64 v[4:5], v[18:19], s[4:5]
	v_mul_f64 v[6:7], v[6:7], s[4:5]
	global_store_dwordx4 v[16:17], v[4:7], off
	global_load_dwordx4 v[4:7], v157, s[8:9] offset:2080
	v_mad_u64_u32 v[16:17], s[6:7], s0, v2, v[16:17]
	v_add_u32_e32 v17, s2, v17
	s_waitcnt vmcnt(0) lgkmcnt(0)
	v_mul_f64 v[8:9], v[14:15], v[6:7]
	v_mul_f64 v[6:7], v[12:13], v[6:7]
	v_fmac_f64_e32 v[8:9], v[12:13], v[4:5]
	v_fma_f64 v[6:7], v[4:5], v[14:15], -v[6:7]
	v_mul_f64 v[4:5], v[8:9], s[4:5]
	v_mul_f64 v[6:7], v[6:7], s[4:5]
	global_store_dwordx4 v[16:17], v[4:7], off
	global_load_dwordx4 v[4:7], v157, s[8:9] offset:2240
	ds_read_b128 v[8:11], v222 offset:2240
	ds_read_b128 v[12:15], v222 offset:2400
	v_mad_u64_u32 v[16:17], s[6:7], s0, v2, v[16:17]
	v_add_u32_e32 v17, s2, v17
	s_waitcnt vmcnt(0) lgkmcnt(1)
	v_mul_f64 v[18:19], v[10:11], v[6:7]
	v_mul_f64 v[6:7], v[8:9], v[6:7]
	v_fmac_f64_e32 v[18:19], v[8:9], v[4:5]
	v_fma_f64 v[6:7], v[4:5], v[10:11], -v[6:7]
	v_mul_f64 v[4:5], v[18:19], s[4:5]
	v_mul_f64 v[6:7], v[6:7], s[4:5]
	global_store_dwordx4 v[16:17], v[4:7], off
	global_load_dwordx4 v[4:7], v157, s[8:9] offset:2400
	v_mad_u64_u32 v[8:9], s[6:7], s0, v2, v[16:17]
	v_add_u32_e32 v9, s2, v9
	s_waitcnt vmcnt(0) lgkmcnt(0)
	v_mul_f64 v[2:3], v[14:15], v[6:7]
	v_mul_f64 v[6:7], v[12:13], v[6:7]
	v_fmac_f64_e32 v[2:3], v[12:13], v[4:5]
	v_fma_f64 v[4:5], v[4:5], v[14:15], -v[6:7]
	v_mul_f64 v[2:3], v[2:3], s[4:5]
	v_mul_f64 v[4:5], v[4:5], s[4:5]
	global_store_dwordx4 v[8:9], v[2:5], off
	global_load_dwordx4 v[2:5], v157, s[8:9] offset:2560
	ds_read_b128 v[6:9], v222 offset:2560
	v_or_b32_e32 v13, 0xa0, v152
	v_mad_u64_u32 v[10:11], s[2:3], s0, v13, 0
	v_mov_b32_e32 v12, v11
	v_mad_u64_u32 v[12:13], s[0:1], s1, v13, v[12:13]
	v_mov_b32_e32 v11, v12
	v_lshl_add_u64 v[0:1], v[10:11], 4, v[0:1]
	s_waitcnt vmcnt(0) lgkmcnt(0)
	v_mul_f64 v[12:13], v[8:9], v[4:5]
	v_mul_f64 v[4:5], v[6:7], v[4:5]
	v_fmac_f64_e32 v[12:13], v[6:7], v[2:3]
	v_fma_f64 v[4:5], v[2:3], v[8:9], -v[4:5]
	v_mul_f64 v[2:3], v[12:13], s[4:5]
	v_mul_f64 v[4:5], v[4:5], s[4:5]
	global_store_dwordx4 v[0:1], v[2:5], off
.LBB0_15:
	s_endpgm
	.section	.rodata,"a",@progbits
	.p2align	6, 0x0
	.amdhsa_kernel bluestein_single_back_len170_dim1_dp_op_CI_CI
		.amdhsa_group_segment_fixed_size 19040
		.amdhsa_private_segment_fixed_size 0
		.amdhsa_kernarg_size 104
		.amdhsa_user_sgpr_count 2
		.amdhsa_user_sgpr_dispatch_ptr 0
		.amdhsa_user_sgpr_queue_ptr 0
		.amdhsa_user_sgpr_kernarg_segment_ptr 1
		.amdhsa_user_sgpr_dispatch_id 0
		.amdhsa_user_sgpr_kernarg_preload_length 0
		.amdhsa_user_sgpr_kernarg_preload_offset 0
		.amdhsa_user_sgpr_private_segment_size 0
		.amdhsa_uses_dynamic_stack 0
		.amdhsa_enable_private_segment 0
		.amdhsa_system_sgpr_workgroup_id_x 1
		.amdhsa_system_sgpr_workgroup_id_y 0
		.amdhsa_system_sgpr_workgroup_id_z 0
		.amdhsa_system_sgpr_workgroup_info 0
		.amdhsa_system_vgpr_workitem_id 0
		.amdhsa_next_free_vgpr 416
		.amdhsa_next_free_sgpr 62
		.amdhsa_accum_offset 256
		.amdhsa_reserve_vcc 1
		.amdhsa_float_round_mode_32 0
		.amdhsa_float_round_mode_16_64 0
		.amdhsa_float_denorm_mode_32 3
		.amdhsa_float_denorm_mode_16_64 3
		.amdhsa_dx10_clamp 1
		.amdhsa_ieee_mode 1
		.amdhsa_fp16_overflow 0
		.amdhsa_tg_split 0
		.amdhsa_exception_fp_ieee_invalid_op 0
		.amdhsa_exception_fp_denorm_src 0
		.amdhsa_exception_fp_ieee_div_zero 0
		.amdhsa_exception_fp_ieee_overflow 0
		.amdhsa_exception_fp_ieee_underflow 0
		.amdhsa_exception_fp_ieee_inexact 0
		.amdhsa_exception_int_div_zero 0
	.end_amdhsa_kernel
	.text
.Lfunc_end0:
	.size	bluestein_single_back_len170_dim1_dp_op_CI_CI, .Lfunc_end0-bluestein_single_back_len170_dim1_dp_op_CI_CI
                                        ; -- End function
	.section	.AMDGPU.csdata,"",@progbits
; Kernel info:
; codeLenInByte = 23364
; NumSgprs: 68
; NumVgprs: 256
; NumAgprs: 160
; TotalNumVgprs: 416
; ScratchSize: 0
; MemoryBound: 0
; FloatMode: 240
; IeeeMode: 1
; LDSByteSize: 19040 bytes/workgroup (compile time only)
; SGPRBlocks: 8
; VGPRBlocks: 51
; NumSGPRsForWavesPerEU: 68
; NumVGPRsForWavesPerEU: 416
; AccumOffset: 256
; Occupancy: 1
; WaveLimiterHint : 1
; COMPUTE_PGM_RSRC2:SCRATCH_EN: 0
; COMPUTE_PGM_RSRC2:USER_SGPR: 2
; COMPUTE_PGM_RSRC2:TRAP_HANDLER: 0
; COMPUTE_PGM_RSRC2:TGID_X_EN: 1
; COMPUTE_PGM_RSRC2:TGID_Y_EN: 0
; COMPUTE_PGM_RSRC2:TGID_Z_EN: 0
; COMPUTE_PGM_RSRC2:TIDIG_COMP_CNT: 0
; COMPUTE_PGM_RSRC3_GFX90A:ACCUM_OFFSET: 63
; COMPUTE_PGM_RSRC3_GFX90A:TG_SPLIT: 0
	.text
	.p2alignl 6, 3212836864
	.fill 256, 4, 3212836864
	.type	__hip_cuid_ce4a44db95682294,@object ; @__hip_cuid_ce4a44db95682294
	.section	.bss,"aw",@nobits
	.globl	__hip_cuid_ce4a44db95682294
__hip_cuid_ce4a44db95682294:
	.byte	0                               ; 0x0
	.size	__hip_cuid_ce4a44db95682294, 1

	.ident	"AMD clang version 19.0.0git (https://github.com/RadeonOpenCompute/llvm-project roc-6.4.0 25133 c7fe45cf4b819c5991fe208aaa96edf142730f1d)"
	.section	".note.GNU-stack","",@progbits
	.addrsig
	.addrsig_sym __hip_cuid_ce4a44db95682294
	.amdgpu_metadata
---
amdhsa.kernels:
  - .agpr_count:     160
    .args:
      - .actual_access:  read_only
        .address_space:  global
        .offset:         0
        .size:           8
        .value_kind:     global_buffer
      - .actual_access:  read_only
        .address_space:  global
        .offset:         8
        .size:           8
        .value_kind:     global_buffer
      - .actual_access:  read_only
        .address_space:  global
        .offset:         16
        .size:           8
        .value_kind:     global_buffer
      - .actual_access:  read_only
        .address_space:  global
        .offset:         24
        .size:           8
        .value_kind:     global_buffer
      - .actual_access:  read_only
        .address_space:  global
        .offset:         32
        .size:           8
        .value_kind:     global_buffer
      - .offset:         40
        .size:           8
        .value_kind:     by_value
      - .address_space:  global
        .offset:         48
        .size:           8
        .value_kind:     global_buffer
      - .address_space:  global
        .offset:         56
        .size:           8
        .value_kind:     global_buffer
      - .address_space:  global
        .offset:         64
        .size:           8
        .value_kind:     global_buffer
      - .address_space:  global
        .offset:         72
        .size:           8
        .value_kind:     global_buffer
      - .offset:         80
        .size:           4
        .value_kind:     by_value
      - .address_space:  global
        .offset:         88
        .size:           8
        .value_kind:     global_buffer
      - .address_space:  global
        .offset:         96
        .size:           8
        .value_kind:     global_buffer
    .group_segment_fixed_size: 19040
    .kernarg_segment_align: 8
    .kernarg_segment_size: 104
    .language:       OpenCL C
    .language_version:
      - 2
      - 0
    .max_flat_workgroup_size: 119
    .name:           bluestein_single_back_len170_dim1_dp_op_CI_CI
    .private_segment_fixed_size: 0
    .sgpr_count:     68
    .sgpr_spill_count: 0
    .symbol:         bluestein_single_back_len170_dim1_dp_op_CI_CI.kd
    .uniform_work_group_size: 1
    .uses_dynamic_stack: false
    .vgpr_count:     416
    .vgpr_spill_count: 0
    .wavefront_size: 64
amdhsa.target:   amdgcn-amd-amdhsa--gfx950
amdhsa.version:
  - 1
  - 2
...

	.end_amdgpu_metadata
